;; amdgpu-corpus repo=ROCm/rocFFT kind=compiled arch=gfx1030 opt=O3
	.text
	.amdgcn_target "amdgcn-amd-amdhsa--gfx1030"
	.amdhsa_code_object_version 6
	.protected	bluestein_single_back_len1625_dim1_half_op_CI_CI ; -- Begin function bluestein_single_back_len1625_dim1_half_op_CI_CI
	.globl	bluestein_single_back_len1625_dim1_half_op_CI_CI
	.p2align	8
	.type	bluestein_single_back_len1625_dim1_half_op_CI_CI,@function
bluestein_single_back_len1625_dim1_half_op_CI_CI: ; @bluestein_single_back_len1625_dim1_half_op_CI_CI
; %bb.0:
	s_load_dwordx4 s[12:15], s[4:5], 0x28
	v_mul_u32_u24_e32 v1, 0x3f1, v0
	v_mov_b32_e32 v63, 0
	s_mov_b32 s0, exec_lo
	v_lshrrev_b32_e32 v2, 16, v1
	v_lshl_add_u32 v62, s6, 1, v2
	s_waitcnt lgkmcnt(0)
	v_cmpx_gt_u64_e64 s[12:13], v[62:63]
	s_cbranch_execz .LBB0_15
; %bb.1:
	s_clause 0x1
	s_load_dwordx4 s[8:11], s[4:5], 0x18
	s_load_dwordx2 s[6:7], s[4:5], 0x0
	v_mul_lo_u16 v1, 0x41, v2
	v_sub_nc_u16 v8, v0, v1
	v_and_b32_e32 v100, 0xffff, v8
	v_lshlrev_b32_e32 v9, 2, v100
	s_waitcnt lgkmcnt(0)
	s_load_dwordx4 s[0:3], s[8:9], 0x0
	s_clause 0x4
	global_load_dword v103, v9, s[6:7]
	global_load_dword v102, v9, s[6:7] offset:500
	global_load_dword v101, v9, s[6:7] offset:1000
	;; [unrolled: 1-line block ×4, first 2 shown]
	s_waitcnt lgkmcnt(0)
	v_mad_u64_u32 v[0:1], null, s2, v62, 0
	v_mad_u64_u32 v[3:4], null, s0, v100, 0
	v_add_co_u32 v60, s2, s6, v9
	s_mul_hi_u32 s8, s0, 0x7d
	v_add_co_ci_u32_e64 v61, null, s7, 0, s2
	v_mad_u64_u32 v[5:6], null, s3, v62, v[1:2]
	s_mul_i32 s3, s1, 0x7d
	s_mul_i32 s2, s0, 0x7d
	s_add_i32 s3, s8, s3
	v_and_b32_e32 v2, 1, v2
	s_lshl_b64 s[2:3], s[2:3], 2
	s_load_dwordx2 s[6:7], s[4:5], 0x38
	v_mad_u64_u32 v[6:7], null, s1, v100, v[4:5]
	v_mov_b32_e32 v1, v5
	v_lshlrev_b64 v[0:1], 2, v[0:1]
	v_mov_b32_e32 v4, v6
	v_add_co_u32 v0, vcc_lo, s14, v0
	v_lshlrev_b64 v[3:4], 2, v[3:4]
	v_add_co_ci_u32_e32 v1, vcc_lo, s15, v1, vcc_lo
	v_add_co_u32 v0, vcc_lo, v0, v3
	v_add_co_ci_u32_e32 v1, vcc_lo, v1, v4, vcc_lo
	global_load_dword v5, v[0:1], off
	v_add_co_u32 v0, vcc_lo, v0, s2
	v_add_co_ci_u32_e32 v1, vcc_lo, s3, v1, vcc_lo
	v_add_co_u32 v58, vcc_lo, 0x800, v60
	v_add_co_ci_u32_e32 v59, vcc_lo, 0, v61, vcc_lo
	global_load_dword v6, v[0:1], off
	v_add_co_u32 v0, vcc_lo, v0, s2
	v_add_co_ci_u32_e32 v1, vcc_lo, s3, v1, vcc_lo
	global_load_dword v97, v[58:59], off offset:452
	v_add_co_u32 v3, vcc_lo, v0, s2
	v_add_co_ci_u32_e32 v4, vcc_lo, s3, v1, vcc_lo
	s_clause 0x1
	global_load_dword v7, v[0:1], off
	global_load_dword v10, v[3:4], off
	v_add_co_u32 v0, vcc_lo, v3, s2
	v_add_co_ci_u32_e32 v1, vcc_lo, s3, v4, vcc_lo
	v_add_co_u32 v3, vcc_lo, v0, s2
	v_add_co_ci_u32_e32 v4, vcc_lo, s3, v1, vcc_lo
	global_load_dword v11, v[0:1], off
	v_add_co_u32 v0, vcc_lo, v3, s2
	v_add_co_ci_u32_e32 v1, vcc_lo, s3, v4, vcc_lo
	global_load_dword v12, v[3:4], off
	v_add_co_u32 v3, vcc_lo, v0, s2
	v_add_co_ci_u32_e32 v4, vcc_lo, s3, v1, vcc_lo
	v_add_co_u32 v56, vcc_lo, 0x1000, v60
	global_load_dword v96, v[58:59], off offset:952
	global_load_dword v13, v[0:1], off
	global_load_dword v14, v[3:4], off
	v_add_co_ci_u32_e32 v57, vcc_lo, 0, v61, vcc_lo
	v_add_co_u32 v0, vcc_lo, v3, s2
	v_add_co_ci_u32_e32 v1, vcc_lo, s3, v4, vcc_lo
	s_clause 0x2
	global_load_dword v95, v[58:59], off offset:1452
	global_load_dword v94, v[58:59], off offset:1952
	;; [unrolled: 1-line block ×3, first 2 shown]
	v_add_co_u32 v3, vcc_lo, v0, s2
	v_add_co_ci_u32_e32 v4, vcc_lo, s3, v1, vcc_lo
	global_load_dword v15, v[0:1], off
	v_add_co_u32 v0, vcc_lo, v3, s2
	v_add_co_ci_u32_e32 v1, vcc_lo, s3, v4, vcc_lo
	global_load_dword v16, v[3:4], off
	;; [unrolled: 3-line block ×3, first 2 shown]
	v_add_co_u32 v0, vcc_lo, v3, s2
	v_add_co_ci_u32_e32 v1, vcc_lo, s3, v4, vcc_lo
	global_load_dword v92, v[56:57], off offset:904
	global_load_dword v18, v[3:4], off
	global_load_dword v19, v[0:1], off
	s_clause 0x1
	global_load_dword v91, v[56:57], off offset:1404
	global_load_dword v90, v[56:57], off offset:1904
	v_cmp_eq_u32_e32 vcc_lo, 1, v2
	s_load_dwordx4 s[8:11], s[10:11], 0x0
	v_cndmask_b32_e64 v2, 0, 0x659, vcc_lo
	v_cmp_gt_u16_e32 vcc_lo, 60, v8
	v_lshlrev_b32_e32 v104, 2, v2
	v_add_nc_u32_e32 v89, v104, v9
	v_add_nc_u32_e32 v2, 0x200, v89
	;; [unrolled: 1-line block ×4, first 2 shown]
	s_waitcnt vmcnt(20)
	v_lshrrev_b32_e32 v9, 16, v5
	v_mul_f16_sdwa v20, v103, v5 dst_sel:DWORD dst_unused:UNUSED_PAD src0_sel:WORD_1 src1_sel:DWORD
	v_mul_f16_sdwa v21, v103, v9 dst_sel:DWORD dst_unused:UNUSED_PAD src0_sel:WORD_1 src1_sel:DWORD
	v_fma_f16 v9, v103, v9, -v20
	s_waitcnt vmcnt(19)
	v_lshrrev_b32_e32 v22, 16, v6
	v_mul_f16_sdwa v23, v102, v6 dst_sel:DWORD dst_unused:UNUSED_PAD src0_sel:WORD_1 src1_sel:DWORD
	v_fmac_f16_e32 v21, v103, v5
	v_mul_f16_sdwa v5, v102, v22 dst_sel:DWORD dst_unused:UNUSED_PAD src0_sel:WORD_1 src1_sel:DWORD
	v_fma_f16 v22, v102, v22, -v23
	v_pack_b32_f16 v9, v21, v9
	s_waitcnt vmcnt(17)
	v_lshrrev_b32_e32 v20, 16, v7
	v_mul_f16_sdwa v23, v101, v7 dst_sel:DWORD dst_unused:UNUSED_PAD src0_sel:WORD_1 src1_sel:DWORD
	v_fmac_f16_e32 v5, v102, v6
	s_waitcnt vmcnt(16)
	v_lshrrev_b32_e32 v21, 16, v10
	v_mul_f16_sdwa v24, v99, v10 dst_sel:DWORD dst_unused:UNUSED_PAD src0_sel:WORD_1 src1_sel:DWORD
	v_mul_f16_sdwa v6, v101, v20 dst_sel:DWORD dst_unused:UNUSED_PAD src0_sel:WORD_1 src1_sel:DWORD
	v_fma_f16 v20, v101, v20, -v23
	v_pack_b32_f16 v5, v5, v22
	v_fmac_f16_e32 v6, v101, v7
	v_mul_f16_sdwa v7, v99, v21 dst_sel:DWORD dst_unused:UNUSED_PAD src0_sel:WORD_1 src1_sel:DWORD
	v_fma_f16 v21, v99, v21, -v24
	s_waitcnt vmcnt(15)
	v_lshrrev_b32_e32 v22, 16, v11
	v_mul_f16_sdwa v23, v98, v11 dst_sel:DWORD dst_unused:UNUSED_PAD src0_sel:WORD_1 src1_sel:DWORD
	ds_write2_b32 v89, v9, v5 offset1:125
	v_pack_b32_f16 v5, v6, v20
	v_fmac_f16_e32 v7, v99, v10
	v_mul_f16_sdwa v6, v98, v22 dst_sel:DWORD dst_unused:UNUSED_PAD src0_sel:WORD_1 src1_sel:DWORD
	s_waitcnt vmcnt(14)
	v_lshrrev_b32_e32 v9, 16, v12
	v_mul_f16_sdwa v10, v97, v12 dst_sel:DWORD dst_unused:UNUSED_PAD src0_sel:WORD_1 src1_sel:DWORD
	v_fma_f16 v20, v98, v22, -v23
	v_pack_b32_f16 v7, v7, v21
	v_fmac_f16_e32 v6, v98, v11
	v_mul_f16_sdwa v11, v97, v9 dst_sel:DWORD dst_unused:UNUSED_PAD src0_sel:WORD_1 src1_sel:DWORD
	v_fma_f16 v9, v97, v9, -v10
	s_waitcnt vmcnt(12)
	v_lshrrev_b32_e32 v10, 16, v13
	v_mul_f16_sdwa v21, v96, v13 dst_sel:DWORD dst_unused:UNUSED_PAD src0_sel:WORD_1 src1_sel:DWORD
	ds_write2_b32 v2, v5, v7 offset0:122 offset1:247
	v_pack_b32_f16 v5, v6, v20
	v_fmac_f16_e32 v11, v97, v12
	v_mul_f16_sdwa v6, v96, v10 dst_sel:DWORD dst_unused:UNUSED_PAD src0_sel:WORD_1 src1_sel:DWORD
	s_waitcnt vmcnt(11)
	v_lshrrev_b32_e32 v7, 16, v14
	s_waitcnt vmcnt(10)
	v_mul_f16_sdwa v12, v95, v14 dst_sel:DWORD dst_unused:UNUSED_PAD src0_sel:WORD_1 src1_sel:DWORD
	v_fma_f16 v10, v96, v10, -v21
	v_pack_b32_f16 v9, v11, v9
	v_fmac_f16_e32 v6, v96, v13
	v_mul_f16_sdwa v11, v95, v7 dst_sel:DWORD dst_unused:UNUSED_PAD src0_sel:WORD_1 src1_sel:DWORD
	v_fma_f16 v7, v95, v7, -v12
	s_waitcnt vmcnt(7)
	v_lshrrev_b32_e32 v12, 16, v15
	v_mul_f16_sdwa v13, v94, v15 dst_sel:DWORD dst_unused:UNUSED_PAD src0_sel:WORD_1 src1_sel:DWORD
	ds_write2_b32 v3, v5, v9 offset0:116 offset1:241
	v_pack_b32_f16 v9, v6, v10
	v_fmac_f16_e32 v11, v95, v14
	v_mul_f16_sdwa v5, v94, v12 dst_sel:DWORD dst_unused:UNUSED_PAD src0_sel:WORD_1 src1_sel:DWORD
	s_waitcnt vmcnt(6)
	v_lshrrev_b32_e32 v6, 16, v16
	v_fma_f16 v10, v94, v12, -v13
	v_mul_f16_sdwa v12, v93, v16 dst_sel:DWORD dst_unused:UNUSED_PAD src0_sel:WORD_1 src1_sel:DWORD
	v_pack_b32_f16 v7, v11, v7
	v_fmac_f16_e32 v5, v94, v15
	v_mul_f16_sdwa v11, v93, v6 dst_sel:DWORD dst_unused:UNUSED_PAD src0_sel:WORD_1 src1_sel:DWORD
	s_waitcnt vmcnt(5)
	v_lshrrev_b32_e32 v13, 16, v17
	v_fma_f16 v6, v93, v6, -v12
	s_waitcnt vmcnt(4)
	v_mul_f16_sdwa v12, v92, v17 dst_sel:DWORD dst_unused:UNUSED_PAD src0_sel:WORD_1 src1_sel:DWORD
	v_pack_b32_f16 v10, v5, v10
	v_fmac_f16_e32 v11, v93, v16
	s_waitcnt vmcnt(3)
	v_lshrrev_b32_e32 v5, 16, v18
	s_waitcnt vmcnt(2)
	v_lshrrev_b32_e32 v15, 16, v19
	v_mul_f16_sdwa v14, v92, v13 dst_sel:DWORD dst_unused:UNUSED_PAD src0_sel:WORD_1 src1_sel:DWORD
	v_fma_f16 v12, v92, v13, -v12
	s_waitcnt vmcnt(1)
	v_mul_f16_sdwa v13, v91, v18 dst_sel:DWORD dst_unused:UNUSED_PAD src0_sel:WORD_1 src1_sel:DWORD
	v_pack_b32_f16 v11, v11, v6
	v_mul_f16_sdwa v6, v91, v5 dst_sel:DWORD dst_unused:UNUSED_PAD src0_sel:WORD_1 src1_sel:DWORD
	s_waitcnt vmcnt(0)
	v_mul_f16_sdwa v16, v90, v15 dst_sel:DWORD dst_unused:UNUSED_PAD src0_sel:WORD_1 src1_sel:DWORD
	v_mul_f16_sdwa v20, v90, v19 dst_sel:DWORD dst_unused:UNUSED_PAD src0_sel:WORD_1 src1_sel:DWORD
	v_fma_f16 v13, v91, v5, -v13
	v_fmac_f16_e32 v14, v92, v17
	v_fmac_f16_e32 v6, v91, v18
	;; [unrolled: 1-line block ×3, first 2 shown]
	v_fma_f16 v15, v90, v15, -v20
	v_add_nc_u32_e32 v5, 0xe00, v89
	v_pack_b32_f16 v12, v14, v12
	v_pack_b32_f16 v13, v6, v13
	v_add_nc_u32_e32 v6, 0x1200, v89
	v_pack_b32_f16 v14, v16, v15
	ds_write2_b32 v4, v9, v7 offset0:110 offset1:235
	ds_write2_b32 v5, v10, v11 offset0:104 offset1:229
	;; [unrolled: 1-line block ×3, first 2 shown]
	ds_write_b32 v89, v14 offset:6000
	s_and_saveexec_b32 s12, vcc_lo
	s_cbranch_execz .LBB0_3
; %bb.2:
	v_mad_u64_u32 v[0:1], null, 0xffffe994, s0, v[0:1]
	s_mulk_i32 s1, 0xe994
	v_add_nc_u32_e32 v33, 0x800, v89
	s_sub_i32 s0, s1, s0
	v_add_nc_u32_e32 v37, 0xc00, v89
	v_add_nc_u32_e32 v1, s0, v1
	global_load_dword v11, v[0:1], off
	v_add_co_u32 v0, s0, v0, s2
	v_add_co_ci_u32_e64 v1, s0, s3, v1, s0
	s_clause 0x3
	global_load_dword v12, v[60:61], off offset:260
	global_load_dword v13, v[60:61], off offset:760
	;; [unrolled: 1-line block ×4, first 2 shown]
	v_add_co_u32 v7, s0, v0, s2
	v_add_co_ci_u32_e64 v8, s0, s3, v1, s0
	global_load_dword v16, v[0:1], off
	v_add_co_u32 v0, s0, v7, s2
	v_add_co_ci_u32_e64 v1, s0, s3, v8, s0
	global_load_dword v17, v[7:8], off
	;; [unrolled: 3-line block ×4, first 2 shown]
	v_add_co_u32 v7, s0, v0, s2
	v_add_co_ci_u32_e64 v8, s0, s3, v1, s0
	s_clause 0x1
	global_load_dword v20, v[58:59], off offset:212
	global_load_dword v21, v[58:59], off offset:712
	global_load_dword v22, v[0:1], off
	global_load_dword v23, v[7:8], off
	v_add_co_u32 v0, s0, v7, s2
	v_add_co_ci_u32_e64 v1, s0, s3, v8, s0
	s_clause 0x4
	global_load_dword v24, v[58:59], off offset:1212
	global_load_dword v25, v[58:59], off offset:1712
	;; [unrolled: 1-line block ×5, first 2 shown]
	v_add_co_u32 v7, s0, v0, s2
	v_add_co_ci_u32_e64 v8, s0, s3, v1, s0
	global_load_dword v29, v[0:1], off
	v_add_co_u32 v0, s0, v7, s2
	v_add_co_ci_u32_e64 v1, s0, s3, v8, s0
	global_load_dword v30, v[7:8], off
	;; [unrolled: 3-line block ×4, first 2 shown]
	v_add_co_u32 v7, s0, v0, s2
	v_add_co_ci_u32_e64 v8, s0, s3, v1, s0
	v_add_co_u32 v9, s0, 0x1800, v60
	v_add_co_ci_u32_e64 v10, s0, 0, v61, s0
	global_load_dword v0, v[0:1], off
	global_load_dword v1, v[7:8], off
	s_clause 0x1
	global_load_dword v7, v[56:57], off offset:1664
	global_load_dword v8, v[9:10], off offset:116
	v_add_nc_u32_e32 v10, 0x400, v89
	s_waitcnt vmcnt(25)
	v_lshrrev_b32_e32 v9, 16, v11
	s_waitcnt vmcnt(24)
	v_mul_f16_sdwa v34, v12, v11 dst_sel:DWORD dst_unused:UNUSED_PAD src0_sel:WORD_1 src1_sel:DWORD
	v_mul_f16_sdwa v35, v12, v9 dst_sel:DWORD dst_unused:UNUSED_PAD src0_sel:WORD_1 src1_sel:DWORD
	v_fma_f16 v9, v12, v9, -v34
	s_waitcnt vmcnt(20)
	v_lshrrev_b32_e32 v36, 16, v16
	v_mul_f16_sdwa v38, v13, v16 dst_sel:DWORD dst_unused:UNUSED_PAD src0_sel:WORD_1 src1_sel:DWORD
	v_fmac_f16_e32 v35, v12, v11
	v_mul_f16_sdwa v11, v13, v36 dst_sel:DWORD dst_unused:UNUSED_PAD src0_sel:WORD_1 src1_sel:DWORD
	s_waitcnt vmcnt(19)
	v_lshrrev_b32_e32 v12, 16, v17
	v_fma_f16 v34, v13, v36, -v38
	v_mul_f16_sdwa v36, v14, v17 dst_sel:DWORD dst_unused:UNUSED_PAD src0_sel:WORD_1 src1_sel:DWORD
	v_pack_b32_f16 v9, v35, v9
	v_fmac_f16_e32 v11, v13, v16
	v_mul_f16_sdwa v13, v14, v12 dst_sel:DWORD dst_unused:UNUSED_PAD src0_sel:WORD_1 src1_sel:DWORD
	s_waitcnt vmcnt(18)
	v_lshrrev_b32_e32 v16, 16, v18
	v_mul_f16_sdwa v35, v15, v18 dst_sel:DWORD dst_unused:UNUSED_PAD src0_sel:WORD_1 src1_sel:DWORD
	v_fma_f16 v12, v14, v12, -v36
	v_pack_b32_f16 v11, v11, v34
	v_fmac_f16_e32 v13, v14, v17
	v_mul_f16_sdwa v14, v15, v16 dst_sel:DWORD dst_unused:UNUSED_PAD src0_sel:WORD_1 src1_sel:DWORD
	s_waitcnt vmcnt(17)
	v_lshrrev_b32_e32 v17, 16, v19
	v_fma_f16 v16, v15, v16, -v35
	s_waitcnt vmcnt(16)
	v_mul_f16_sdwa v34, v20, v19 dst_sel:DWORD dst_unused:UNUSED_PAD src0_sel:WORD_1 src1_sel:DWORD
	ds_write2_b32 v89, v9, v11 offset0:65 offset1:190
	v_fmac_f16_e32 v14, v15, v18
	v_mul_f16_sdwa v11, v20, v17 dst_sel:DWORD dst_unused:UNUSED_PAD src0_sel:WORD_1 src1_sel:DWORD
	v_pack_b32_f16 v9, v13, v12
	s_waitcnt vmcnt(14)
	v_lshrrev_b32_e32 v12, 16, v22
	v_mul_f16_sdwa v13, v21, v22 dst_sel:DWORD dst_unused:UNUSED_PAD src0_sel:WORD_1 src1_sel:DWORD
	v_fma_f16 v15, v20, v17, -v34
	v_pack_b32_f16 v14, v14, v16
	v_fmac_f16_e32 v11, v20, v19
	v_mul_f16_sdwa v16, v21, v12 dst_sel:DWORD dst_unused:UNUSED_PAD src0_sel:WORD_1 src1_sel:DWORD
	v_fma_f16 v12, v21, v12, -v13
	s_waitcnt vmcnt(13)
	v_lshrrev_b32_e32 v13, 16, v23
	ds_write2_b32 v10, v9, v14 offset0:59 offset1:184
	v_pack_b32_f16 v9, v11, v15
	s_waitcnt vmcnt(7)
	v_lshrrev_b32_e32 v11, 16, v29
	v_mul_f16_sdwa v17, v24, v23 dst_sel:DWORD dst_unused:UNUSED_PAD src0_sel:WORD_1 src1_sel:DWORD
	v_fmac_f16_e32 v16, v21, v22
	v_mul_f16_sdwa v10, v24, v13 dst_sel:DWORD dst_unused:UNUSED_PAD src0_sel:WORD_1 src1_sel:DWORD
	v_mul_f16_sdwa v14, v25, v29 dst_sel:DWORD dst_unused:UNUSED_PAD src0_sel:WORD_1 src1_sel:DWORD
	;; [unrolled: 1-line block ×3, first 2 shown]
	v_fma_f16 v13, v24, v13, -v17
	v_pack_b32_f16 v12, v16, v12
	v_fmac_f16_e32 v10, v24, v23
	s_waitcnt vmcnt(6)
	v_lshrrev_b32_e32 v16, 16, v30
	v_fma_f16 v11, v25, v11, -v14
	v_mul_f16_sdwa v14, v26, v30 dst_sel:DWORD dst_unused:UNUSED_PAD src0_sel:WORD_1 src1_sel:DWORD
	v_fmac_f16_e32 v15, v25, v29
	s_waitcnt vmcnt(5)
	v_lshrrev_b32_e32 v17, 16, v31
	v_pack_b32_f16 v10, v10, v13
	v_mul_f16_sdwa v13, v26, v16 dst_sel:DWORD dst_unused:UNUSED_PAD src0_sel:WORD_1 src1_sel:DWORD
	v_fma_f16 v14, v26, v16, -v14
	v_mul_f16_sdwa v16, v27, v31 dst_sel:DWORD dst_unused:UNUSED_PAD src0_sel:WORD_1 src1_sel:DWORD
	v_pack_b32_f16 v11, v15, v11
	v_mul_f16_sdwa v15, v27, v17 dst_sel:DWORD dst_unused:UNUSED_PAD src0_sel:WORD_1 src1_sel:DWORD
	v_fmac_f16_e32 v13, v26, v30
	s_waitcnt vmcnt(4)
	v_lshrrev_b32_e32 v18, 16, v32
	v_fma_f16 v16, v27, v17, -v16
	v_mul_f16_sdwa v17, v28, v32 dst_sel:DWORD dst_unused:UNUSED_PAD src0_sel:WORD_1 src1_sel:DWORD
	v_fmac_f16_e32 v15, v27, v31
	s_waitcnt vmcnt(3)
	v_lshrrev_b32_e32 v19, 16, v0
	s_waitcnt vmcnt(2)
	v_lshrrev_b32_e32 v20, 16, v1
	v_pack_b32_f16 v13, v13, v14
	v_mul_f16_sdwa v14, v28, v18 dst_sel:DWORD dst_unused:UNUSED_PAD src0_sel:WORD_1 src1_sel:DWORD
	v_fma_f16 v17, v28, v18, -v17
	s_waitcnt vmcnt(1)
	v_mul_f16_sdwa v18, v7, v0 dst_sel:DWORD dst_unused:UNUSED_PAD src0_sel:WORD_1 src1_sel:DWORD
	v_pack_b32_f16 v15, v15, v16
	v_mul_f16_sdwa v16, v7, v19 dst_sel:DWORD dst_unused:UNUSED_PAD src0_sel:WORD_1 src1_sel:DWORD
	s_waitcnt vmcnt(0)
	v_mul_f16_sdwa v21, v8, v20 dst_sel:DWORD dst_unused:UNUSED_PAD src0_sel:WORD_1 src1_sel:DWORD
	v_mul_f16_sdwa v22, v8, v1 dst_sel:DWORD dst_unused:UNUSED_PAD src0_sel:WORD_1 src1_sel:DWORD
	v_fmac_f16_e32 v14, v28, v32
	v_fma_f16 v18, v7, v19, -v18
	v_fmac_f16_e32 v16, v7, v0
	v_fmac_f16_e32 v21, v8, v1
	v_fma_f16 v0, v8, v20, -v22
	v_add_nc_u32_e32 v1, 0x1000, v89
	v_pack_b32_f16 v7, v14, v17
	v_pack_b32_f16 v8, v16, v18
	v_add_nc_u32_e32 v14, 0x1400, v89
	v_pack_b32_f16 v0, v21, v0
	ds_write2_b32 v33, v9, v12 offset0:53 offset1:178
	ds_write2_b32 v37, v10, v11 offset0:47 offset1:172
	;; [unrolled: 1-line block ×4, first 2 shown]
	ds_write_b32 v89, v0 offset:6260
.LBB0_3:
	s_or_b32 exec_lo, exec_lo, s12
	s_waitcnt lgkmcnt(0)
	s_barrier
	buffer_gl0_inv
	ds_read2_b32 v[12:13], v89 offset1:125
	ds_read2_b32 v[22:23], v2 offset0:122 offset1:247
	ds_read2_b32 v[18:19], v3 offset0:116 offset1:241
	;; [unrolled: 1-line block ×5, first 2 shown]
	ds_read_b32 v29, v89 offset:6000
	s_load_dwordx2 s[0:1], s[4:5], 0x8
	v_mov_b32_e32 v2, 0
                                        ; implicit-def: $vgpr24
                                        ; implicit-def: $vgpr1
                                        ; implicit-def: $vgpr5
                                        ; implicit-def: $vgpr7
                                        ; implicit-def: $vgpr9
                                        ; implicit-def: $vgpr11
	s_and_saveexec_b32 s2, vcc_lo
	s_cbranch_execz .LBB0_5
; %bb.4:
	v_add_nc_u32_e32 v0, 0x400, v89
	v_add_nc_u32_e32 v1, 0x800, v89
	;; [unrolled: 1-line block ×5, first 2 shown]
	ds_read2_b32 v[2:3], v89 offset0:65 offset1:190
	ds_read2_b32 v[10:11], v0 offset0:59 offset1:184
	;; [unrolled: 1-line block ×6, first 2 shown]
	ds_read_b32 v24, v89 offset:6260
.LBB0_5:
	s_or_b32 exec_lo, exec_lo, s2
	s_waitcnt lgkmcnt(0)
	v_pk_add_f16 v30, v12, v13
	v_pk_add_f16 v35, v29, v13
	v_mov_b32_e32 v28, 0xb770
	v_pk_add_f16 v37, v13, v29 neg_lo:[0,1] neg_hi:[0,1]
	v_pk_add_f16 v13, v15, v22
	v_pk_add_f16 v30, v30, v22
	v_pk_mul_f16 v31, 0x3b15388b, v35
	v_mov_b32_e32 v25, 0xba95
	v_pk_add_f16 v41, v22, v15 neg_lo:[0,1] neg_hi:[0,1]
	v_mul_f16_sdwa v54, v37, v28 dst_sel:DWORD dst_unused:UNUSED_PAD src0_sel:WORD_1 src1_sel:DWORD
	v_pk_add_f16 v30, v30, v23
	v_pk_mul_f16 v34, 0x388bb5ac, v13
	v_pk_fma_f16 v53, 0xba95b770, v37, v31 op_sel:[0,0,1] op_sel_hi:[1,1,0] neg_lo:[0,1,0] neg_hi:[0,1,0]
	v_pk_fma_f16 v64, 0xba95b770, v37, v31 op_sel:[0,0,1] op_sel_hi:[1,1,0]
	v_lshrrev_b32_e32 v55, 16, v35
	v_pk_add_f16 v30, v30, v18
	v_mul_f16_e32 v63, 0xba95, v37
	v_mul_f16_sdwa v32, v41, v25 dst_sel:DWORD dst_unused:UNUSED_PAD src0_sel:WORD_1 src1_sel:DWORD
	v_fma_f16 v38, v35, 0x3b15, -v54
	v_pk_fma_f16 v52, 0xbb7bba95, v41, v34 op_sel:[0,0,1] op_sel_hi:[1,1,0]
	v_pk_add_f16 v33, v30, v19
	v_bfi_b32 v45, 0xffff, v64, v53
	v_pk_add_f16 v22, v14, v23
	v_pk_add_f16 v44, v23, v14 neg_lo:[0,1] neg_hi:[0,1]
	v_lshrrev_b32_e32 v46, 16, v13
	v_pk_add_f16 v33, v33, v16
	v_mul_f16_e32 v50, 0xbb7b, v41
	v_fmamk_f16 v39, v55, 0x388b, v63
	v_fma_f16 v40, v13, 0x388b, -v32
	v_add_f16_e32 v38, v12, v38
	v_pk_add_f16 v31, v33, v17
	v_pk_fma_f16 v33, 0xbb7bba95, v41, v34 op_sel:[0,0,1] op_sel_hi:[1,1,0] neg_lo:[0,1,0] neg_hi:[0,1,0]
	v_pk_add_f16 v45, v12, v45 op_sel:[1,0] op_sel_hi:[0,1]
	v_mov_b32_e32 v27, 0xbbf1
	v_pk_add_f16 v23, v21, v18
	v_pk_add_f16 v34, v31, v20
	v_bfi_b32 v47, 0xffff, v52, v33
	v_pk_mul_f16 v36, 0x2fb7bbc4, v22
	v_fmamk_f16 v42, v46, 0xb5ac, v50
	v_add_f16_sdwa v39, v12, v39 dst_sel:DWORD dst_unused:UNUSED_PAD src0_sel:WORD_1 src1_sel:DWORD
	v_pk_add_f16 v34, v34, v21
	v_mul_f16_e32 v51, 0xb3a8, v44
	v_mov_b32_e32 v26, 0xbb7b
	v_mul_f16_sdwa v30, v44, v27 dst_sel:DWORD dst_unused:UNUSED_PAD src0_sel:WORD_1 src1_sel:DWORD
	v_pk_fma_f16 v31, 0xb3a8bbf1, v44, v36 op_sel:[0,0,1] op_sel_hi:[1,1,0] neg_lo:[0,1,0] neg_hi:[0,1,0]
	v_pk_add_f16 v65, v34, v14
	v_add_f16_e32 v14, v40, v38
	v_pk_add_f16 v38, v47, v45
	v_lshrrev_b32_e32 v47, 16, v22
	v_pk_fma_f16 v49, 0xb3a8bbf1, v44, v36 op_sel:[0,0,1] op_sel_hi:[1,1,0]
	v_add_f16_e32 v36, v42, v39
	v_pk_add_f16 v66, v18, v21 neg_lo:[0,1] neg_hi:[0,1]
	v_pk_mul_f16 v39, 0xb5acb9fd, v23
	v_fmamk_f16 v40, v47, 0xbbc4, v51
	v_fma_f16 v43, v22, 0x2fb7, -v30
	v_bfi_b32 v18, 0xffff, v49, v31
	v_mul_f16_sdwa v34, v66, v26 dst_sel:DWORD dst_unused:UNUSED_PAD src0_sel:WORD_1 src1_sel:DWORD
	v_pk_fma_f16 v21, 0x394ebb7b, v66, v39 op_sel:[0,0,1] op_sel_hi:[1,1,0] neg_lo:[0,1,0] neg_hi:[0,1,0]
	v_pk_fma_f16 v48, 0x394ebb7b, v66, v39 op_sel:[0,0,1] op_sel_hi:[1,1,0]
	v_add_f16_e32 v39, v40, v36
	v_pk_add_f16 v36, v20, v19
	v_add_f16_e32 v14, v43, v14
	v_pk_add_f16 v38, v18, v38
	v_fma_f16 v40, v23, 0xb5ac, -v34
	v_pk_add_f16 v67, v19, v20 neg_lo:[0,1] neg_hi:[0,1]
	v_bfi_b32 v19, 0xffff, v48, v21
	v_lshrrev_b32_e32 v68, 16, v23
	v_mul_f16_e32 v69, 0x394e, v66
	v_pk_mul_f16 v42, 0xb9fd2fb7, v36
	v_mov_b32_e32 v18, 0xb94e
	v_add_f16_e32 v43, v40, v14
	v_pk_add_f16 v38, v19, v38
	v_fmamk_f16 v14, v68, 0xb9fd, v69
	v_pk_fma_f16 v19, 0x3bf1b94e, v67, v42 op_sel:[0,0,1] op_sel_hi:[1,1,0] neg_lo:[0,1,0] neg_hi:[0,1,0]
	v_pk_add_f16 v40, v17, v16
	v_pk_fma_f16 v70, 0x3bf1b94e, v67, v42 op_sel:[0,0,1] op_sel_hi:[1,1,0]
	v_mul_f16_sdwa v20, v67, v18 dst_sel:DWORD dst_unused:UNUSED_PAD src0_sel:WORD_1 src1_sel:DWORD
	v_lshrrev_b32_e32 v71, 16, v36
	v_mul_f16_e32 v72, 0x3bf1, v67
	v_pk_add_f16 v17, v16, v17 neg_lo:[0,1] neg_hi:[0,1]
	v_pk_mul_f16 v73, 0xbbc43b15, v40
	v_add_f16_e32 v16, v14, v39
	v_bfi_b32 v45, 0xffff, v70, v19
	v_mov_b32_e32 v14, 0xb3a8
	v_fma_f16 v39, v36, 0xb9fd, -v20
	v_fmamk_f16 v74, v71, 0x2fb7, v72
	v_pk_fma_f16 v42, 0x3770b3a8, v17, v73 op_sel:[0,0,1] op_sel_hi:[1,1,0] neg_lo:[0,1,0] neg_hi:[0,1,0]
	v_pk_fma_f16 v75, 0x3770b3a8, v17, v73 op_sel:[0,0,1] op_sel_hi:[1,1,0]
	v_lshrrev_b32_e32 v76, 16, v40
	v_mul_f16_e32 v77, 0x3770, v17
	v_pk_add_f16 v38, v45, v38
	v_mul_f16_sdwa v45, v17, v14 dst_sel:DWORD dst_unused:UNUSED_PAD src0_sel:WORD_1 src1_sel:DWORD
	v_bfi_b32 v75, 0xffff, v75, v42
	v_add_f16_e32 v16, v74, v16
	v_fmamk_f16 v74, v76, 0x3b15, v77
	v_add_f16_e32 v39, v39, v43
	v_fma_f16 v43, v40, 0xbbc4, -v45
	v_pk_add_f16 v38, v75, v38
	v_mul_lo_u16 v75, v100, 13
	v_add_f16_e32 v16, v74, v16
	v_pk_add_f16 v65, v65, v15
	v_add_f16_e32 v15, v43, v39
	v_mul_f16_sdwa v74, v37, v27 dst_sel:DWORD dst_unused:UNUSED_PAD src0_sel:WORD_1 src1_sel:DWORD
	v_mul_f16_e32 v78, 0xbbf1, v37
	v_and_b32_e32 v39, 0xffff, v75
	v_alignbit_b32 v75, v16, v38, 16
	v_pack_b32_f16 v79, v15, v38
	v_fma_f16 v15, v35, 0x2fb7, -v74
	v_mul_f16_sdwa v80, v41, v14 dst_sel:DWORD dst_unused:UNUSED_PAD src0_sel:WORD_1 src1_sel:DWORD
	v_fmamk_f16 v16, v55, 0x2fb7, v78
	v_mul_f16_e32 v81, 0xb3a8, v41
	v_lshl_add_u32 v107, v39, 2, v104
	v_add_f16_e32 v38, v12, v15
	v_fma_f16 v39, v13, 0xbbc4, -v80
	v_add_f16_sdwa v16, v12, v16 dst_sel:DWORD dst_unused:UNUSED_PAD src0_sel:WORD_1 src1_sel:DWORD
	v_mul_f16_sdwa v82, v37, v26 dst_sel:DWORD dst_unused:UNUSED_PAD src0_sel:WORD_1 src1_sel:DWORD
	v_mov_b32_e32 v15, 0x394e
	v_fmamk_f16 v43, v46, 0xbbc4, v81
	v_mul_f16_e32 v83, 0xbb7b, v37
	v_add_f16_e32 v38, v39, v38
	v_fma_f16 v39, v35, 0xb5ac, -v82
	v_mul_f16_sdwa v84, v41, v15 dst_sel:DWORD dst_unused:UNUSED_PAD src0_sel:WORD_1 src1_sel:DWORD
	v_add_f16_e32 v43, v43, v16
	v_mov_b32_e32 v16, 0x3b7b
	v_fmamk_f16 v85, v55, 0xb5ac, v83
	v_mul_f16_e32 v87, 0x394e, v41
	v_add_f16_e32 v39, v12, v39
	v_fma_f16 v86, v13, 0xb9fd, -v84
	v_mul_f16_sdwa v88, v44, v16 dst_sel:DWORD dst_unused:UNUSED_PAD src0_sel:WORD_1 src1_sel:DWORD
	v_add_f16_sdwa v85, v12, v85 dst_sel:DWORD dst_unused:UNUSED_PAD src0_sel:WORD_1 src1_sel:DWORD
	v_mul_f16_e32 v105, 0x3b7b, v44
	v_mov_b32_e32 v16, 0x3770
	v_fmamk_f16 v106, v46, 0xb9fd, v87
	v_add_f16_e32 v39, v86, v39
	v_fma_f16 v108, v22, 0xb5ac, -v88
	v_fmamk_f16 v86, v47, 0xb5ac, v105
	v_mul_f16_sdwa v109, v44, v16 dst_sel:DWORD dst_unused:UNUSED_PAD src0_sel:WORD_1 src1_sel:DWORD
	v_add_f16_e32 v85, v106, v85
	v_mul_f16_e32 v106, 0x3770, v44
	v_mul_f16_e32 v110, 0x3770, v66
	v_add_f16_e32 v43, v86, v43
	v_fma_f16 v86, v22, 0x3b15, -v109
	v_mul_f16_sdwa v112, v66, v27 dst_sel:DWORD dst_unused:UNUSED_PAD src0_sel:WORD_1 src1_sel:DWORD
	v_fmamk_f16 v111, v47, 0x3b15, v106
	v_add_f16_e32 v38, v108, v38
	v_mul_f16_sdwa v108, v66, v16 dst_sel:DWORD dst_unused:UNUSED_PAD src0_sel:WORD_1 src1_sel:DWORD
	v_add_f16_e32 v86, v86, v39
	v_fmamk_f16 v113, v68, 0x3b15, v110
	v_add_f16_e32 v85, v111, v85
	v_fma_f16 v111, v23, 0x2fb7, -v112
	v_mul_f16_e32 v114, 0xbbf1, v66
	v_fma_f16 v39, v23, 0x3b15, -v108
	v_add_f16_e32 v43, v113, v43
	v_mul_f16_sdwa v113, v67, v25 dst_sel:DWORD dst_unused:UNUSED_PAD src0_sel:WORD_1 src1_sel:DWORD
	v_add_f16_e32 v86, v111, v86
	v_fmamk_f16 v111, v68, 0x2fb7, v114
	v_mul_f16_e32 v117, 0x33a8, v67
	v_add_f16_e32 v38, v39, v38
	v_mul_f16_e32 v122, 0xb94e, v37
	v_mov_b32_e32 v39, 0x33a8
	v_add_f16_e32 v85, v111, v85
	v_fma_f16 v111, v36, 0x388b, -v113
	v_fmamk_f16 v120, v71, 0xbbc4, v117
	v_fmamk_f16 v125, v55, 0xb9fd, v122
	v_mul_f16_e32 v126, 0x3bf1, v41
	v_mul_f16_e32 v115, 0xba95, v67
	v_add_f16_e32 v111, v111, v38
	v_add_f16_e32 v85, v120, v85
	v_mul_f16_sdwa v120, v37, v18 dst_sel:DWORD dst_unused:UNUSED_PAD src0_sel:WORD_1 src1_sel:DWORD
	v_mov_b32_e32 v38, 0x3bf1
	v_mul_f16_sdwa v116, v67, v39 dst_sel:DWORD dst_unused:UNUSED_PAD src0_sel:WORD_1 src1_sel:DWORD
	v_add_f16_sdwa v125, v12, v125 dst_sel:DWORD dst_unused:UNUSED_PAD src0_sel:WORD_1 src1_sel:DWORD
	v_fmamk_f16 v129, v46, 0x2fb7, v126
	v_fma_f16 v123, v35, 0xb9fd, -v120
	v_mul_f16_sdwa v124, v41, v38 dst_sel:DWORD dst_unused:UNUSED_PAD src0_sel:WORD_1 src1_sel:DWORD
	v_mul_f16_sdwa v130, v44, v25 dst_sel:DWORD dst_unused:UNUSED_PAD src0_sel:WORD_1 src1_sel:DWORD
	v_mul_f16_e32 v131, 0xba95, v44
	v_fmamk_f16 v118, v71, 0x388b, v115
	v_add_f16_e32 v123, v12, v123
	v_fma_f16 v128, v13, 0x2fb7, -v124
	v_fma_f16 v119, v36, 0xbbc4, -v116
	v_mul_f16_sdwa v121, v17, v18 dst_sel:DWORD dst_unused:UNUSED_PAD src0_sel:WORD_1 src1_sel:DWORD
	v_add_f16_e32 v125, v129, v125
	v_fmamk_f16 v129, v47, 0x388b, v131
	v_add_f16_e32 v123, v128, v123
	v_fma_f16 v128, v22, 0x388b, -v130
	v_mul_f16_sdwa v133, v66, v39 dst_sel:DWORD dst_unused:UNUSED_PAD src0_sel:WORD_1 src1_sel:DWORD
	v_mul_f16_e32 v134, 0x33a8, v66
	v_add_f16_e32 v118, v118, v43
	v_add_f16_e32 v86, v119, v86
	v_fma_f16 v119, v40, 0xb9fd, -v121
	v_mov_b32_e32 v43, 0x3a95
	v_add_f16_e32 v123, v128, v123
	v_add_f16_e32 v125, v129, v125
	v_fma_f16 v128, v23, 0xbbc4, -v133
	v_fmamk_f16 v129, v68, 0xbbc4, v134
	v_mul_f16_sdwa v136, v67, v16 dst_sel:DWORD dst_unused:UNUSED_PAD src0_sel:WORD_1 src1_sel:DWORD
	v_mul_f16_e32 v137, 0x3770, v67
	v_add_f16_e32 v111, v119, v111
	v_mul_f16_sdwa v119, v17, v43 dst_sel:DWORD dst_unused:UNUSED_PAD src0_sel:WORD_1 src1_sel:DWORD
	v_mul_f16_e32 v132, 0x3a95, v17
	v_mul_f16_e32 v138, 0xb9fd, v76
	v_add_f16_e32 v123, v128, v123
	v_add_f16_e32 v125, v129, v125
	v_fma_f16 v128, v36, 0x3b15, -v136
	v_fmamk_f16 v129, v71, 0x3b15, v137
	v_mul_f16_sdwa v139, v17, v26 dst_sel:DWORD dst_unused:UNUSED_PAD src0_sel:WORD_1 src1_sel:DWORD
	v_mul_f16_e32 v140, 0xbb7b, v17
	v_fma_f16 v127, v40, 0x388b, -v119
	v_fmamk_f16 v135, v76, 0x388b, v132
	v_fmamk_f16 v141, v17, 0xb94e, v138
	v_add_f16_e32 v123, v128, v123
	v_add_f16_e32 v125, v129, v125
	v_fma_f16 v128, v40, 0xb5ac, -v139
	v_fmamk_f16 v129, v76, 0xb5ac, v140
	v_add_f16_e32 v86, v127, v86
	v_add_f16_e32 v85, v135, v85
	;; [unrolled: 1-line block ×5, first 2 shown]
	s_barrier
	v_pack_b32_f16 v85, v86, v85
	v_pack_b32_f16 v86, v111, v118
	buffer_gl0_inv
	ds_write2_b32 v107, v79, v75 offset0:1 offset1:2
	v_pk_mul_f16 v75, 0xbbc4, v35 op_sel_hi:[0,1]
	v_pk_add_f16 v29, v65, v29
	v_pack_b32_f16 v65, v123, v125
	ds_write2_b32 v107, v86, v85 offset0:3 offset1:4
	ds_write2_b32 v107, v29, v65 offset1:5
	v_pk_fma_f16 v65, 0xb3a8, v37, v75 op_sel:[0,0,1] op_sel_hi:[0,1,0] neg_lo:[0,1,0] neg_hi:[0,1,0]
	v_pk_fma_f16 v37, 0xb3a8, v37, v75 op_sel:[0,0,1] op_sel_hi:[0,1,0]
	v_pk_mul_f16 v75, 0x3b15, v13 op_sel_hi:[0,1]
	v_fmac_f16_e32 v54, 0x3b15, v35
	v_fmac_f16_e32 v74, 0x2fb7, v35
	v_pk_add_f16 v65, v12, v65 op_sel:[1,0] op_sel_hi:[0,1]
	v_pk_add_f16 v37, v12, v37 op_sel:[1,0] op_sel_hi:[0,1]
	v_pk_fma_f16 v79, 0x3770, v41, v75 op_sel:[0,0,1] op_sel_hi:[0,1,0] neg_lo:[0,1,0] neg_hi:[0,1,0]
	v_pk_fma_f16 v41, 0x3770, v41, v75 op_sel:[0,0,1] op_sel_hi:[0,1,0]
	v_pk_mul_f16 v75, 0xb9fd, v22 op_sel_hi:[0,1]
	v_fmac_f16_e32 v82, 0xb5ac, v35
	v_fmac_f16_e32 v120, 0xb9fd, v35
	v_pk_add_f16 v65, v79, v65
	v_pk_add_f16 v37, v41, v37
	v_pk_fma_f16 v41, 0xb94e, v44, v75 op_sel:[0,0,1] op_sel_hi:[0,1,0] neg_lo:[0,1,0] neg_hi:[0,1,0]
	v_pk_fma_f16 v44, 0xb94e, v44, v75 op_sel:[0,0,1] op_sel_hi:[0,1,0]
	v_pk_mul_f16 v75, 0x388b, v23 op_sel_hi:[0,1]
	v_fma_f16 v29, v55, 0x388b, -v63
	v_fma_f16 v63, v55, 0x2fb7, -v78
	v_pk_add_f16 v35, v41, v65
	v_pk_add_f16 v37, v44, v37
	v_pk_fma_f16 v41, 0x3a95, v66, v75 op_sel:[0,0,1] op_sel_hi:[0,1,0] neg_lo:[0,1,0] neg_hi:[0,1,0]
	v_pk_fma_f16 v44, 0x3a95, v66, v75 op_sel:[0,0,1] op_sel_hi:[0,1,0]
	v_pk_mul_f16 v65, 0xb5ac, v36 op_sel_hi:[0,1]
	v_fma_f16 v78, v55, 0xb5ac, -v83
	v_fma_f16 v55, v55, 0xb9fd, -v122
	v_pk_add_f16 v35, v41, v35
	v_pk_add_f16 v37, v44, v37
	v_pk_fma_f16 v41, 0xbb7b, v67, v65 op_sel:[0,0,1] op_sel_hi:[0,1,0] neg_lo:[0,1,0] neg_hi:[0,1,0]
	v_pk_fma_f16 v44, 0xbb7b, v67, v65 op_sel:[0,0,1] op_sel_hi:[0,1,0]
	v_pk_mul_f16 v65, 0x2fb7, v40 op_sel_hi:[0,1]
	v_add_f16_e32 v54, v12, v54
	v_pk_add_f16 v64, v12, v64 op_sel:[1,0] op_sel_hi:[0,1]
	v_pk_add_f16 v35, v41, v35
	v_pk_add_f16 v37, v44, v37
	v_pk_fma_f16 v41, 0x3bf1, v17, v65 op_sel:[0,0,1] op_sel_hi:[0,1,0] neg_lo:[0,1,0] neg_hi:[0,1,0]
	v_pk_fma_f16 v44, 0x3bf1, v17, v65 op_sel:[0,0,1] op_sel_hi:[0,1,0]
	v_add_f16_sdwa v29, v12, v29 dst_sel:DWORD dst_unused:UNUSED_PAD src0_sel:WORD_1 src1_sel:DWORD
	v_add_f16_e32 v66, v12, v74
	v_add_f16_sdwa v63, v12, v63 dst_sel:DWORD dst_unused:UNUSED_PAD src0_sel:WORD_1 src1_sel:DWORD
	v_add_f16_e32 v65, v12, v82
	v_add_f16_sdwa v67, v12, v78 dst_sel:DWORD dst_unused:UNUSED_PAD src0_sel:WORD_1 src1_sel:DWORD
	v_pk_add_f16 v35, v41, v35
	v_pk_add_f16 v37, v44, v37
	v_add_f16_e32 v41, v12, v120
	v_add_f16_sdwa v44, v12, v55 dst_sel:DWORD dst_unused:UNUSED_PAD src0_sel:WORD_1 src1_sel:DWORD
	v_add_f16_sdwa v74, v12, v53 dst_sel:DWORD dst_unused:UNUSED_PAD src0_sel:WORD_1 src1_sel:DWORD
	v_fma_f16 v12, v46, 0xb5ac, -v50
	v_fma_f16 v50, v46, 0xb9fd, -v87
	v_alignbit_b32 v75, v35, v37, 16
	v_alignbit_b32 v78, v37, v35, 16
	v_fmac_f16_e32 v80, 0xbbc4, v13
	v_add_f16_e32 v12, v12, v29
	v_fma_f16 v29, v46, 0xbbc4, -v81
	v_fma_f16 v46, v46, 0x2fb7, -v126
	v_pk_add_f16 v35, v52, v64
	v_fmac_f16_e32 v84, 0xb9fd, v13
	v_add_f16_e32 v37, v80, v66
	v_add_f16_e32 v29, v29, v63
	v_add_f16_e32 v44, v46, v44
	v_fma_f16 v46, v47, 0xb5ac, -v105
	v_add_f16_e32 v52, v84, v65
	v_add_f16_e32 v50, v50, v67
	v_fma_f16 v51, v47, 0xbbc4, -v51
	v_fmac_f16_e32 v88, 0xb5ac, v22
	v_pk_add_f16 v35, v49, v35
	v_fmac_f16_e32 v109, 0x3b15, v22
	v_fma_f16 v49, v47, 0x3b15, -v106
	v_add_f16_e32 v29, v46, v29
	v_fma_f16 v46, v47, 0x388b, -v131
	v_add_f16_e32 v12, v51, v12
	v_add_f16_e32 v37, v88, v37
	;; [unrolled: 1-line block ×4, first 2 shown]
	v_fma_f16 v50, v68, 0xb9fd, -v69
	v_add_f16_e32 v44, v46, v44
	v_pk_add_f16 v35, v48, v35
	v_fmac_f16_e32 v108, 0x3b15, v23
	v_fma_f16 v46, v68, 0x3b15, -v110
	v_fmac_f16_e32 v112, 0x2fb7, v23
	v_fma_f16 v48, v68, 0x2fb7, -v114
	v_add_f16_e32 v12, v50, v12
	v_add_f16_e32 v37, v108, v37
	;; [unrolled: 1-line block ×5, first 2 shown]
	v_fma_f16 v48, v68, 0xbbc4, -v134
	v_fma_f16 v49, v71, 0x2fb7, -v72
	v_fmac_f16_e32 v113, 0x388b, v36
	v_fmac_f16_e32 v124, 0x2fb7, v13
	;; [unrolled: 1-line block ×3, first 2 shown]
	v_add_f16_e32 v44, v48, v44
	v_fma_f16 v48, v71, 0xbbc4, -v117
	v_add_f16_e32 v12, v49, v12
	v_add_f16_e32 v37, v113, v37
	v_fma_f16 v49, v71, 0x3b15, -v137
	v_fma_f16 v50, v76, 0x3b15, -v77
	v_fmac_f16_e32 v121, 0xb9fd, v40
	v_add_f16_e32 v41, v124, v41
	v_fmac_f16_e32 v130, 0x388b, v22
	v_add_f16_e32 v29, v116, v29
	v_add_f16_e32 v47, v48, v47
	v_fma_f16 v48, v71, 0x388b, -v115
	v_fmac_f16_e32 v119, 0x388b, v40
	v_add_f16_e32 v44, v49, v44
	v_add_f16_e32 v49, v50, v12
	v_fma_f16 v50, v76, 0x388b, -v132
	v_add_f16_e32 v66, v121, v37
	v_mul_f16_e32 v37, 0xb94e, v17
	v_pk_add_f16 v12, v3, v24 neg_lo:[0,1] neg_hi:[0,1]
	v_pk_mul_f16 v17, 0x3770b3a8, v17
	v_add_f16_e32 v41, v130, v41
	v_fmac_f16_e32 v133, 0xbbc4, v23
	v_add_f16_e32 v51, v119, v29
	v_add_f16_e32 v47, v50, v47
	v_pk_add_f16 v29, v24, v3
	v_bfi_b32 v37, 0xffff, v37, v35
	v_mul_f16_sdwa v50, v12, v28 dst_sel:DWORD dst_unused:UNUSED_PAD src0_sel:WORD_1 src1_sel:DWORD
	v_pack_b32_f16 v48, v48, v73
	v_bfi_b32 v17, 0xffff, v46, v17
	v_add_f16_e32 v41, v133, v41
	v_fmac_f16_e32 v136, 0x3b15, v36
	v_fma_f16 v28, v76, 0xb5ac, -v140
	v_pk_add_f16 v37, v138, v37 neg_lo:[0,1] neg_hi:[0,1]
	v_fmamk_f16 v52, v29, 0x3b15, v50
	v_pk_add_f16 v35, v70, v35
	v_pk_add_f16 v48, v48, v17
	v_pk_add_f16 v17, v10, v1 neg_lo:[0,1] neg_hi:[0,1]
	v_add_f16_e32 v41, v136, v41
	v_lshrrev_b32_e32 v46, 16, v29
	v_fmac_f16_e32 v139, 0xb5ac, v40
	v_mul_f16_e32 v55, 0xb770, v12
	v_add_f16_e32 v53, v52, v2
	v_bfi_b32 v35, 0xffff, v37, v35
	v_pk_add_f16 v37, v1, v10
	v_add_f16_e32 v44, v28, v44
	v_mul_f16_sdwa v52, v17, v25 dst_sel:DWORD dst_unused:UNUSED_PAD src0_sel:WORD_1 src1_sel:DWORD
	v_pk_add_f16 v28, v11, v0 neg_lo:[0,1] neg_hi:[0,1]
	v_add_f16_e32 v65, v139, v41
	v_fma_f16 v64, v46, 0x3b15, -v55
	v_pk_add_f16 v67, v35, v48
	v_pack_b32_f16 v68, v51, v47
	v_lshrrev_b32_e32 v47, 16, v37
	v_mul_f16_e32 v63, 0xba95, v17
	v_pk_add_f16 v41, v0, v11
	v_fmamk_f16 v35, v37, 0x388b, v52
	v_mul_f16_sdwa v51, v28, v27 dst_sel:DWORD dst_unused:UNUSED_PAD src0_sel:WORD_1 src1_sel:DWORD
	v_add_f16_sdwa v69, v64, v2 dst_sel:DWORD dst_unused:UNUSED_PAD src0_sel:DWORD src1_sel:WORD_1
	v_fma_f16 v70, v47, 0x388b, -v63
	v_lshrrev_b32_e32 v48, 16, v41
	v_mul_f16_e32 v64, 0xbbf1, v28
	v_pack_b32_f16 v71, v65, v44
	v_add_f16_e32 v53, v35, v53
	v_fmamk_f16 v65, v41, 0x2fb7, v51
	v_pk_add_f16 v35, v8, v5 neg_lo:[0,1] neg_hi:[0,1]
	v_add_f16_e32 v69, v70, v69
	v_fma_f16 v70, v48, 0x2fb7, -v64
	v_pk_add_f16 v44, v5, v8
	v_add_f16_e32 v73, v65, v53
	v_mul_f16_sdwa v53, v35, v26 dst_sel:DWORD dst_unused:UNUSED_PAD src0_sel:WORD_1 src1_sel:DWORD
	v_fmac_f16_e32 v32, 0x388b, v13
	v_pk_add_f16 v13, v9, v4 neg_lo:[0,1] neg_hi:[0,1]
	v_add_f16_e32 v69, v70, v69
	v_fmac_f16_e32 v30, 0x2fb7, v22
	v_fmamk_f16 v70, v44, 0xb5ac, v53
	v_add_f16_e32 v76, v32, v54
	v_pk_add_f16 v32, v4, v9
	v_mul_f16_sdwa v54, v13, v18 dst_sel:DWORD dst_unused:UNUSED_PAD src0_sel:WORD_1 src1_sel:DWORD
	v_fmac_f16_e32 v34, 0xb5ac, v23
	v_add_f16_e32 v23, v33, v74
	v_alignbit_b32 v72, v49, v67, 16
	v_lshrrev_b32_e32 v49, 16, v44
	v_mul_f16_e32 v65, 0xbb7b, v35
	v_pack_b32_f16 v66, v66, v67
	v_add_f16_e32 v22, v70, v73
	v_fmamk_f16 v67, v32, 0xb9fd, v54
	v_add_f16_e32 v70, v30, v76
	v_add_f16_e32 v31, v31, v23
	v_fma_f16 v77, v49, 0xb5ac, -v65
	v_lshrrev_b32_e32 v30, 16, v32
	v_add_f16_e32 v67, v67, v22
	v_mul_f16_e32 v33, 0xb94e, v13
	v_add_f16_e32 v34, v34, v70
	v_fmac_f16_e32 v20, 0xb9fd, v36
	v_pk_add_f16 v22, v6, v7 neg_lo:[0,1] neg_hi:[0,1]
	v_pk_add_f16 v23, v7, v6
	v_add_f16_e32 v70, v21, v31
	v_add_f16_e32 v69, v77, v69
	v_fma_f16 v36, v30, 0xb9fd, -v33
	v_add_f16_e32 v34, v20, v34
	v_mul_f16_sdwa v21, v22, v14 dst_sel:DWORD dst_unused:UNUSED_PAD src0_sel:WORD_1 src1_sel:DWORD
	v_fmac_f16_e32 v45, 0xbbc4, v40
	v_lshrrev_b32_e32 v20, 16, v23
	v_mul_f16_e32 v31, 0xb3a8, v22
	v_add_f16_e32 v19, v19, v70
	v_fmamk_f16 v40, v23, 0xbbc4, v21
	v_add_f16_e32 v36, v36, v69
	v_add_f16_e32 v34, v45, v34
	v_fma_f16 v45, v20, 0xbbc4, -v31
	v_add_f16_e32 v19, v42, v19
	v_add_co_u32 v42, s2, 0x41, v100
	v_add_f16_e32 v108, v40, v67
	v_add_f16_e32 v109, v45, v36
	v_pack_b32_f16 v19, v34, v19
	v_mul_u32_u24_e32 v106, 13, v42
	v_add_co_ci_u32_e64 v34, null, 0, 0, s2
	ds_write2_b32 v107, v78, v75 offset0:6 offset1:7
	ds_write2_b32 v107, v71, v68 offset0:8 offset1:9
	;; [unrolled: 1-line block ×3, first 2 shown]
	ds_write_b32 v107, v19 offset:48
	s_and_saveexec_b32 s2, vcc_lo
	s_cbranch_execz .LBB0_7
; %bb.6:
	v_mul_f16_e32 v19, 0xb94e, v12
	v_mul_f16_e32 v45, 0x3bf1, v17
	;; [unrolled: 1-line block ×5, first 2 shown]
	v_fmamk_f16 v66, v46, 0xb9fd, v19
	v_fmamk_f16 v70, v47, 0x2fb7, v45
	v_mul_f16_e32 v73, 0x33a8, v35
	v_fmamk_f16 v74, v48, 0x388b, v69
	v_add_f16_e32 v40, v55, v40
	v_add_f16_sdwa v66, v66, v2 dst_sel:DWORD dst_unused:UNUSED_PAD src0_sel:DWORD src1_sel:WORD_1
	v_mul_f16_e32 v72, 0x2fb7, v48
	v_mul_f16_e32 v76, 0x3770, v13
	v_fmamk_f16 v77, v49, 0xbbc4, v73
	v_mul_f16_sdwa v18, v12, v18 dst_sel:DWORD dst_unused:UNUSED_PAD src0_sel:WORD_1 src1_sel:DWORD
	v_add_f16_e32 v66, v70, v66
	v_add_f16_sdwa v40, v40, v2 dst_sel:DWORD dst_unused:UNUSED_PAD src0_sel:DWORD src1_sel:WORD_1
	v_add_f16_e32 v63, v63, v68
	v_mul_f16_e32 v36, 0x3b15, v29
	v_mul_f16_e32 v75, 0xb5ac, v49
	v_add_f16_e32 v66, v74, v66
	v_fmamk_f16 v79, v30, 0x3b15, v76
	v_mul_f16_sdwa v80, v17, v38 dst_sel:DWORD dst_unused:UNUSED_PAD src0_sel:WORD_1 src1_sel:DWORD
	v_add_f16_e32 v40, v63, v40
	v_add_f16_e32 v63, v64, v72
	;; [unrolled: 1-line block ×3, first 2 shown]
	v_fma_f16 v77, v29, 0xb9fd, -v18
	v_mul_f16_e32 v67, 0x388b, v37
	v_mul_f16_e32 v78, 0xb9fd, v30
	v_mul_f16_sdwa v83, v28, v25 dst_sel:DWORD dst_unused:UNUSED_PAD src0_sel:WORD_1 src1_sel:DWORD
	v_add_f16_e32 v66, v79, v66
	v_add_f16_e32 v77, v77, v2
	v_fma_f16 v79, v37, 0x2fb7, -v80
	v_add_f16_e32 v40, v63, v40
	v_add_f16_e32 v63, v65, v75
	v_sub_f16_e32 v36, v36, v50
	v_mul_f16_e32 v71, 0x2fb7, v41
	v_add_f16_e32 v77, v79, v77
	v_fma_f16 v79, v41, 0x388b, -v83
	v_mul_f16_sdwa v87, v35, v39 dst_sel:DWORD dst_unused:UNUSED_PAD src0_sel:WORD_1 src1_sel:DWORD
	v_mul_f16_e32 v115, 0xbbc4, v20
	v_add_f16_e32 v40, v63, v40
	v_add_f16_e32 v33, v33, v78
	;; [unrolled: 1-line block ×3, first 2 shown]
	v_sub_f16_e32 v52, v67, v52
	v_mul_f16_e32 v70, 0xb5ac, v44
	v_add_f16_e32 v77, v79, v77
	v_fma_f16 v79, v44, 0xbbc4, -v87
	v_mul_f16_sdwa v110, v13, v16 dst_sel:DWORD dst_unused:UNUSED_PAD src0_sel:WORD_1 src1_sel:DWORD
	v_fma_f16 v19, v46, 0xb9fd, -v19
	v_add_f16_e32 v33, v33, v40
	v_add_f16_e32 v31, v31, v115
	;; [unrolled: 1-line block ×3, first 2 shown]
	v_sub_f16_e32 v40, v71, v51
	v_mul_f16_e32 v74, 0xb9fd, v32
	v_add_f16_e32 v77, v79, v77
	v_fma_f16 v79, v32, 0x3b15, -v110
	v_mul_f16_sdwa v112, v22, v26 dst_sel:DWORD dst_unused:UNUSED_PAD src0_sel:WORD_1 src1_sel:DWORD
	v_add_f16_sdwa v19, v19, v2 dst_sel:DWORD dst_unused:UNUSED_PAD src0_sel:DWORD src1_sel:WORD_1
	v_fma_f16 v45, v47, 0x2fb7, -v45
	v_add_f16_e32 v31, v31, v33
	v_add_f16_e32 v33, v40, v36
	v_sub_f16_e32 v36, v70, v53
	v_mul_f16_e32 v81, 0xbbc4, v23
	v_mul_f16_e32 v84, 0xbb7b, v22
	v_add_f16_e32 v77, v79, v77
	v_fma_f16 v79, v23, 0xb5ac, -v112
	v_add_f16_e32 v19, v45, v19
	v_fma_f16 v40, v48, 0x388b, -v69
	v_add_f16_e32 v33, v36, v33
	v_sub_f16_e32 v36, v74, v54
	v_mul_f16_e32 v82, 0xbb7b, v12
	v_fmamk_f16 v114, v20, 0xb5ac, v84
	v_add_f16_e32 v77, v79, v77
	v_mul_f16_sdwa v79, v12, v26 dst_sel:DWORD dst_unused:UNUSED_PAD src0_sel:WORD_1 src1_sel:DWORD
	v_add_f16_e32 v19, v40, v19
	v_fma_f16 v40, v49, 0xbbc4, -v73
	v_add_f16_e32 v33, v36, v33
	v_sub_f16_e32 v21, v81, v21
	v_alignbit_b32 v34, v2, v2, 16
	v_mul_f16_e32 v86, 0x394e, v17
	v_add_f16_e32 v66, v114, v66
	v_mul_f16_e32 v114, 0xbbf1, v12
	v_fma_f16 v117, v29, 0xb5ac, -v79
	v_mul_f16_sdwa v118, v17, v15 dst_sel:DWORD dst_unused:UNUSED_PAD src0_sel:WORD_1 src1_sel:DWORD
	v_add_f16_e32 v19, v40, v19
	v_fma_f16 v36, v30, 0x3b15, -v76
	v_add_f16_e32 v21, v21, v33
	v_fma_f16 v33, v46, 0xb5ac, -v82
	v_fmamk_f16 v85, v46, 0xb5ac, v82
	v_mul_f16_e32 v105, 0x3770, v28
	v_fmamk_f16 v120, v46, 0x2fb7, v114
	v_mul_f16_e32 v121, 0xb3a8, v17
	v_add_f16_e32 v117, v117, v2
	v_fma_f16 v122, v37, 0xb9fd, -v118
	v_mul_f16_sdwa v123, v28, v16 dst_sel:DWORD dst_unused:UNUSED_PAD src0_sel:WORD_1 src1_sel:DWORD
	v_add_f16_e32 v19, v36, v19
	v_fma_f16 v36, v20, 0xb5ac, -v84
	v_add_f16_sdwa v33, v33, v2 dst_sel:DWORD dst_unused:UNUSED_PAD src0_sel:DWORD src1_sel:WORD_1
	v_fma_f16 v40, v47, 0xb9fd, -v86
	v_pk_add_f16 v3, v3, v34 op_sel:[0,1] op_sel_hi:[1,0]
	v_add_f16_sdwa v85, v85, v2 dst_sel:DWORD dst_unused:UNUSED_PAD src0_sel:DWORD src1_sel:WORD_1
	v_fmamk_f16 v88, v47, 0xb9fd, v86
	v_mul_f16_e32 v111, 0xbbf1, v35
	v_add_f16_sdwa v120, v120, v2 dst_sel:DWORD dst_unused:UNUSED_PAD src0_sel:DWORD src1_sel:WORD_1
	v_fmamk_f16 v124, v47, 0xbbc4, v121
	v_mul_f16_e32 v125, 0x3b7b, v28
	v_add_f16_e32 v117, v122, v117
	v_fma_f16 v122, v41, 0x3b15, -v123
	v_mul_f16_sdwa v27, v35, v27 dst_sel:DWORD dst_unused:UNUSED_PAD src0_sel:WORD_1 src1_sel:DWORD
	v_add_f16_e32 v19, v36, v19
	v_add_f16_e32 v33, v40, v33
	v_fma_f16 v36, v48, 0x3b15, -v105
	v_fma_f16 v40, v46, 0x2fb7, -v114
	v_pk_add_f16 v3, v10, v3
	v_add_f16_e32 v85, v88, v85
	v_fmamk_f16 v88, v48, 0x3b15, v105
	v_add_f16_e32 v120, v124, v120
	v_fmamk_f16 v124, v48, 0xb5ac, v125
	v_mul_f16_e32 v126, 0x3770, v35
	v_add_f16_e32 v117, v122, v117
	v_fma_f16 v122, v44, 0x2fb7, -v27
	v_mul_f16_sdwa v39, v13, v39 dst_sel:DWORD dst_unused:UNUSED_PAD src0_sel:WORD_1 src1_sel:DWORD
	v_add_f16_e32 v33, v36, v33
	v_fma_f16 v36, v49, 0x2fb7, -v111
	v_add_f16_sdwa v40, v40, v2 dst_sel:DWORD dst_unused:UNUSED_PAD src0_sel:DWORD src1_sel:WORD_1
	v_fma_f16 v46, v47, 0xbbc4, -v121
	v_pk_add_f16 v3, v11, v3
	v_add_f16_e32 v85, v88, v85
	v_fmamk_f16 v88, v49, 0x2fb7, v111
	v_mul_f16_e32 v113, 0x33a8, v13
	v_add_f16_e32 v120, v124, v120
	v_fmamk_f16 v124, v49, 0x3b15, v126
	v_mul_f16_e32 v127, 0xba95, v13
	v_add_f16_e32 v117, v122, v117
	v_fma_f16 v122, v32, 0xbbc4, -v39
	v_mul_f16_sdwa v43, v22, v43 dst_sel:DWORD dst_unused:UNUSED_PAD src0_sel:WORD_1 src1_sel:DWORD
	v_add_f16_e32 v33, v36, v33
	v_add_f16_e32 v36, v46, v40
	v_fma_f16 v40, v48, 0xb5ac, -v125
	v_pk_add_f16 v3, v8, v3
	v_add_f16_e32 v85, v88, v85
	v_fmamk_f16 v88, v30, 0xbbc4, v113
	v_add_f16_e32 v120, v124, v120
	v_fmamk_f16 v124, v30, 0x388b, v127
	v_mul_f16_e32 v128, 0xb94e, v22
	v_add_f16_e32 v117, v122, v117
	v_fma_f16 v122, v23, 0x388b, -v43
	v_add_f16_e32 v36, v40, v36
	v_fma_f16 v40, v49, 0x3b15, -v126
	v_pk_add_f16 v3, v9, v3
	v_add_f16_e32 v85, v88, v85
	v_mul_f16_e32 v88, 0x388b, v20
	v_add_f16_e32 v120, v124, v120
	v_fmamk_f16 v124, v20, 0xb9fd, v128
	v_add_f16_e32 v117, v122, v117
	v_pk_mul_f16 v122, 0x388b2fb7, v29
	v_fma_f16 v46, v30, 0xbbc4, -v113
	v_add_f16_e32 v36, v40, v36
	v_fma_f16 v30, v30, 0x388b, -v127
	v_pk_add_f16 v3, v6, v3
	v_fmamk_f16 v119, v22, 0x3a95, v88
	v_mul_f16_sdwa v25, v12, v25 dst_sel:DWORD dst_unused:UNUSED_PAD src0_sel:WORD_1 src1_sel:DWORD
	v_add_f16_e32 v120, v124, v120
	v_pk_mul_f16 v124, 0xb5acbbc4, v37
	v_pk_fma_f16 v47, 0xbbf1ba95, v12, v122 op_sel:[0,0,1] op_sel_hi:[1,1,0]
	v_add_f16_e32 v30, v30, v36
	v_fma_f16 v10, v20, 0xb9fd, -v128
	v_pk_fma_f16 v11, 0xbbf1ba95, v12, v122 op_sel:[0,0,1] op_sel_hi:[1,1,0] neg_lo:[0,1,0] neg_hi:[0,1,0]
	v_pk_add_f16 v3, v7, v3
	v_add_f16_e32 v85, v119, v85
	v_fma_f16 v119, v29, 0x388b, -v25
	v_mul_f16_sdwa v26, v17, v26 dst_sel:DWORD dst_unused:UNUSED_PAD src0_sel:WORD_1 src1_sel:DWORD
	v_pk_mul_f16 v130, 0xbbc4b5ac, v41
	v_fmac_f16_e32 v18, 0xb9fd, v29
	v_fmac_f16_e32 v79, 0xb5ac, v29
	v_pk_fma_f16 v48, 0xb3a8bb7b, v17, v124 op_sel:[0,0,1] op_sel_hi:[1,1,0]
	v_add_f16_e32 v10, v10, v30
	v_fmac_f16_e32 v25, 0x388b, v29
	v_pk_fma_f16 v8, 0xb3a8bb7b, v17, v124 op_sel:[0,0,1] op_sel_hi:[1,1,0] neg_lo:[0,1,0] neg_hi:[0,1,0]
	v_add_f16_e32 v30, v11, v34
	v_pk_add_f16 v3, v4, v3
	v_bfi_b32 v4, 0xffff, v47, v11
	v_add_f16_e32 v119, v119, v2
	v_fma_f16 v129, v37, 0xb5ac, -v26
	v_mul_f16_sdwa v14, v28, v14 dst_sel:DWORD dst_unused:UNUSED_PAD src0_sel:WORD_1 src1_sel:DWORD
	v_pk_mul_f16 v55, 0xb9fd3b15, v44
	v_add_f16_e32 v18, v18, v2
	v_add_f16_e32 v45, v79, v2
	v_pk_fma_f16 v40, 0x3b7bb3a8, v28, v130 op_sel:[0,0,1] op_sel_hi:[1,1,0]
	v_add_f16_e32 v2, v25, v2
	v_fmac_f16_e32 v26, 0xb5ac, v37
	v_pk_fma_f16 v25, 0x3b7bb3a8, v28, v130 op_sel:[0,0,1] op_sel_hi:[1,1,0] neg_lo:[0,1,0] neg_hi:[0,1,0]
	v_add_f16_e32 v30, v8, v30
	v_pk_add_f16 v3, v5, v3
	v_pk_add_f16 v4, v4, v34
	v_bfi_b32 v5, 0xffff, v48, v8
	v_fmac_f16_e32 v118, 0xb9fd, v37
	v_add_f16_e32 v119, v129, v119
	v_fma_f16 v129, v41, 0xbbc4, -v14
	v_pk_mul_f16 v68, 0x2fb7388b, v32
	v_pk_fma_f16 v36, 0x3770394e, v35, v55 op_sel:[0,0,1] op_sel_hi:[1,1,0]
	v_add_f16_e32 v2, v26, v2
	v_fmac_f16_e32 v14, 0xbbc4, v41
	v_pk_fma_f16 v6, 0x3770394e, v35, v55 op_sel:[0,0,1] op_sel_hi:[1,1,0] neg_lo:[0,1,0] neg_hi:[0,1,0]
	v_add_f16_e32 v30, v25, v30
	v_pk_add_f16 v4, v5, v4
	v_bfi_b32 v5, 0xffff, v40, v25
	v_add_f16_e32 v45, v118, v45
	v_fmac_f16_e32 v123, 0x3b15, v41
	v_pk_mul_f16 v64, 0x3b15b9fd, v23
	v_pk_fma_f16 v9, 0xba953bf1, v13, v68 op_sel:[0,0,1] op_sel_hi:[1,1,0]
	v_pk_fma_f16 v26, 0xba953bf1, v13, v68 op_sel:[0,0,1] op_sel_hi:[1,1,0] neg_lo:[0,1,0] neg_hi:[0,1,0]
	v_add_f16_e32 v2, v14, v2
	v_add_f16_e32 v14, v6, v30
	v_pk_add_f16 v0, v0, v3
	v_pk_add_f16 v4, v5, v4
	v_bfi_b32 v5, 0xffff, v36, v6
	v_add_f16_e32 v45, v123, v45
	v_fmac_f16_e32 v27, 0x2fb7, v44
	v_pk_fma_f16 v7, 0xb94e3770, v22, v64 op_sel:[0,0,1] op_sel_hi:[1,1,0] neg_lo:[0,1,0] neg_hi:[0,1,0]
	v_add_f16_e32 v11, v26, v14
	v_pk_add_f16 v0, v1, v0
	v_pk_mul_f16 v8, 0xbbc4, v29 op_sel_hi:[0,1]
	v_pk_add_f16 v4, v5, v4
	v_bfi_b32 v5, 0xffff, v9, v26
	v_add_f16_e32 v27, v27, v45
	v_fmac_f16_e32 v39, 0xbbc4, v32
	v_pk_add_f16 v45, v47, v34
	v_add_f16_e32 v3, v7, v11
	v_lshl_add_u32 v1, v106, 2, v104
	v_pk_add_f16 v0, v24, v0
	v_pack_b32_f16 v6, v21, v31
	v_pk_fma_f16 v11, 0xb3a8, v12, v8 op_sel:[0,0,1] op_sel_hi:[0,1,0] neg_lo:[0,1,0] neg_hi:[0,1,0]
	v_pk_mul_f16 v14, 0x3b15, v37 op_sel_hi:[0,1]
	v_pk_add_f16 v4, v5, v4
	v_pk_fma_f16 v5, 0xb3a8, v12, v8 op_sel:[0,0,1] op_sel_hi:[0,1,0]
	v_add_f16_e32 v27, v39, v27
	v_fmac_f16_e32 v43, 0x388b, v23
	v_pk_add_f16 v39, v48, v45
	v_mul_f16_sdwa v15, v35, v15 dst_sel:DWORD dst_unused:UNUSED_PAD src0_sel:WORD_1 src1_sel:DWORD
	ds_write2_b32 v1, v0, v6 offset1:1
	v_pk_add_f16 v0, v11, v34
	v_pk_fma_f16 v6, 0x3770, v17, v14 op_sel:[0,0,1] op_sel_hi:[0,1,0] neg_lo:[0,1,0] neg_hi:[0,1,0]
	v_pk_mul_f16 v11, 0xb9fd, v41 op_sel_hi:[0,1]
	v_pk_add_f16 v5, v5, v34
	v_pk_fma_f16 v14, 0x3770, v17, v14 op_sel:[0,0,1] op_sel_hi:[0,1,0]
	v_fmac_f16_e32 v80, 0x2fb7, v37
	v_add_f16_e32 v20, v43, v27
	v_pk_add_f16 v27, v40, v39
	v_add_f16_e32 v119, v129, v119
	v_fma_f16 v129, v44, 0xb9fd, -v15
	v_mul_f16_sdwa v38, v13, v38 dst_sel:DWORD dst_unused:UNUSED_PAD src0_sel:WORD_1 src1_sel:DWORD
	v_pk_fma_f16 v8, 0xb94e3770, v22, v64 op_sel:[0,0,1] op_sel_hi:[1,1,0]
	v_pk_add_f16 v0, v6, v0
	v_pk_fma_f16 v6, 0xb94e, v28, v11 op_sel:[0,0,1] op_sel_hi:[0,1,0] neg_lo:[0,1,0] neg_hi:[0,1,0]
	v_pk_mul_f16 v12, 0x388b, v44 op_sel_hi:[0,1]
	v_pk_add_f16 v5, v14, v5
	v_pk_fma_f16 v11, 0xb94e, v28, v11 op_sel:[0,0,1] op_sel_hi:[0,1,0]
	v_add_f16_e32 v18, v80, v18
	v_fmac_f16_e32 v83, 0x388b, v41
	v_mul_f16_e32 v116, 0x3a95, v22
	v_pk_add_f16 v27, v36, v27
	v_add_f16_e32 v72, v129, v119
	v_fma_f16 v119, v32, 0x2fb7, -v38
	v_mul_f16_sdwa v16, v22, v16 dst_sel:DWORD dst_unused:UNUSED_PAD src0_sel:WORD_1 src1_sel:DWORD
	v_bfi_b32 v7, 0xffff, v8, v7
	v_pk_add_f16 v0, v6, v0
	v_pk_fma_f16 v6, 0x3a95, v35, v12 op_sel:[0,0,1] op_sel_hi:[0,1,0] neg_lo:[0,1,0] neg_hi:[0,1,0]
	v_pk_mul_f16 v8, 0xb5ac, v32 op_sel_hi:[0,1]
	v_pk_add_f16 v5, v11, v5
	v_pk_fma_f16 v11, 0x3a95, v35, v12 op_sel:[0,0,1] op_sel_hi:[0,1,0]
	v_add_f16_e32 v18, v83, v18
	v_fmac_f16_e32 v87, 0xbbc4, v44
	v_pk_mul_f16 v65, 0xb94e3770, v22
	v_bfi_b32 v14, 0xffff, v116, v27
	v_fmac_f16_e32 v15, 0xb9fd, v44
	v_add_f16_e32 v50, v119, v72
	v_fma_f16 v72, v23, 0x3b15, -v16
	v_pk_add_f16 v4, v7, v4
	v_pk_add_f16 v0, v6, v0
	v_pk_fma_f16 v6, 0xbb7b, v13, v8 op_sel:[0,0,1] op_sel_hi:[0,1,0] neg_lo:[0,1,0] neg_hi:[0,1,0]
	v_pk_mul_f16 v7, 0x2fb7, v23 op_sel_hi:[0,1]
	v_pk_add_f16 v5, v11, v5
	v_pk_fma_f16 v8, 0xbb7b, v13, v8 op_sel:[0,0,1] op_sel_hi:[0,1,0]
	v_add_f16_e32 v18, v87, v18
	v_fmac_f16_e32 v110, 0x3b15, v32
	v_pk_add_f16 v11, v88, v14 neg_lo:[0,1] neg_hi:[0,1]
	v_pk_add_f16 v9, v9, v27
	v_pack_b32_f16 v13, v46, v64
	v_bfi_b32 v14, 0xffff, v33, v65
	v_add_f16_e32 v2, v15, v2
	v_fmac_f16_e32 v38, 0x2fb7, v32
	v_add_f16_e32 v50, v72, v50
	v_pk_add_f16 v0, v6, v0
	v_pk_fma_f16 v6, 0x3bf1, v22, v7 op_sel:[0,0,1] op_sel_hi:[0,1,0] neg_lo:[0,1,0] neg_hi:[0,1,0]
	v_pk_add_f16 v5, v8, v5
	v_pk_fma_f16 v7, 0x3bf1, v22, v7 op_sel:[0,0,1] op_sel_hi:[0,1,0]
	v_add_f16_e32 v18, v110, v18
	v_fmac_f16_e32 v112, 0xb5ac, v23
	v_bfi_b32 v8, 0xffff, v11, v9
	v_pk_add_f16 v9, v13, v14
	v_add_f16_e32 v2, v38, v2
	v_fmac_f16_e32 v16, 0x3b15, v23
	v_alignbit_b32 v12, v120, v4, 16
	v_pack_b32_f16 v4, v50, v4
	v_pk_add_f16 v0, v6, v0
	v_pk_add_f16 v5, v7, v5
	v_add_f16_e32 v18, v112, v18
	v_pk_add_f16 v6, v8, v9
	v_add_f16_e32 v2, v16, v2
	ds_write2_b32 v1, v4, v12 offset0:2 offset1:3
	v_pack_b32_f16 v4, v77, v66
	v_pack_b32_f16 v7, v117, v85
	v_alignbit_b32 v8, v0, v5, 16
	v_alignbit_b32 v0, v5, v0, 16
	v_pack_b32_f16 v5, v18, v19
	v_alignbit_b32 v9, v10, v6, 16
	v_pack_b32_f16 v6, v20, v6
	v_pack_b32_f16 v2, v2, v3
	v_perm_b32 v3, v109, v108, 0x5040100
	ds_write2_b32 v1, v7, v4 offset0:4 offset1:5
	ds_write2_b32 v1, v0, v8 offset0:6 offset1:7
	ds_write_b32 v1, v5 offset:32
	ds_write2_b32 v1, v6, v9 offset0:9 offset1:10
	ds_write2_b32 v1, v2, v3 offset0:11 offset1:12
.LBB0_7:
	s_or_b32 exec_lo, exec_lo, s2
	v_and_b32_e32 v0, 0xff, v100
	v_and_b32_e32 v1, 0xff, v42
	v_add_co_u32 v43, null, 0x82, v100
	s_waitcnt lgkmcnt(0)
	v_mul_lo_u16 v0, 0x4f, v0
	s_barrier
	buffer_gl0_inv
	v_and_b32_e32 v26, 0xff, v43
	v_add_co_u32 v63, null, 0xc3, v100
	v_lshrrev_b16 v30, 10, v0
	v_mul_lo_u16 v0, 0x4f, v1
	v_mul_lo_u16 v3, 0x4f, v26
	v_add_co_u32 v64, null, 0x104, v100
	v_mul_lo_u16 v1, v30, 13
	v_lshrrev_b16 v28, 10, v0
	v_mov_b32_e32 v0, 4
	v_lshrrev_b16 v34, 10, v3
	v_add_nc_u32_e32 v67, 0x400, v89
	v_sub_nc_u16 v31, v100, v1
	v_mul_lo_u16 v1, v28, 13
	v_add_nc_u32_e32 v69, 0x800, v89
	v_add_nc_u32_e32 v70, 0xc00, v89
	;; [unrolled: 1-line block ×3, first 2 shown]
	v_lshlrev_b32_sdwa v2, v0, v31 dst_sel:DWORD dst_unused:UNUSED_PAD src0_sel:DWORD src1_sel:BYTE_0
	v_sub_nc_u16 v29, v42, v1
	ds_read2_b32 v[24:25], v89 offset1:65
	ds_read2_b32 v[22:23], v89 offset0:130 offset1:195
	v_add_nc_u32_e32 v71, 0x1000, v89
	global_load_dwordx4 v[4:7], v2, s[0:1]
	v_lshlrev_b32_sdwa v1, v0, v29 dst_sel:DWORD dst_unused:UNUSED_PAD src0_sel:DWORD src1_sel:BYTE_0
	global_load_dwordx4 v[12:15], v1, s[0:1]
	v_mov_b32_e32 v2, 0x4ec5
	v_mul_u32_u24_sdwa v1, v63, v2 dst_sel:DWORD dst_unused:UNUSED_PAD src0_sel:WORD_0 src1_sel:DWORD
	v_mul_u32_u24_sdwa v2, v64, v2 dst_sel:DWORD dst_unused:UNUSED_PAD src0_sel:WORD_0 src1_sel:DWORD
	v_lshrrev_b32_e32 v32, 18, v1
	v_mul_lo_u16 v1, v34, 13
	v_lshrrev_b32_e32 v33, 18, v2
	v_mov_b32_e32 v2, 2
	s_waitcnt lgkmcnt(1)
	v_lshrrev_b32_e32 v41, 16, v24
	v_mul_lo_u16 v3, v32, 13
	v_sub_nc_u16 v38, v43, v1
	v_mul_lo_u16 v1, v33, 13
	v_lshrrev_b32_e32 v40, 16, v25
	s_waitcnt lgkmcnt(0)
	v_lshrrev_b32_e32 v39, 16, v22
	v_sub_nc_u16 v36, v63, v3
	v_lshlrev_b32_sdwa v0, v0, v38 dst_sel:DWORD dst_unused:UNUSED_PAD src0_sel:DWORD src1_sel:BYTE_0
	v_sub_nc_u16 v35, v64, v1
	v_lshrrev_b32_e32 v37, 16, v23
	v_lshlrev_b16 v3, 2, v36
	global_load_dwordx4 v[16:19], v0, s[0:1]
	v_lshlrev_b16 v1, 2, v35
	v_lshlrev_b32_sdwa v0, v2, v3 dst_sel:DWORD dst_unused:UNUSED_PAD src0_sel:DWORD src1_sel:WORD_0
	global_load_dwordx4 v[8:11], v0, s[0:1]
	v_lshlrev_b32_sdwa v0, v2, v1 dst_sel:DWORD dst_unused:UNUSED_PAD src0_sel:DWORD src1_sel:WORD_0
	global_load_dwordx4 v[0:3], v0, s[0:1]
	ds_read_b32 v55, v89 offset:6240
	ds_read2_b32 v[20:21], v67 offset0:4 offset1:69
	ds_read2_b32 v[44:45], v69 offset0:138 offset1:203
	ds_read2_b32 v[47:48], v70 offset0:142 offset1:207
	ds_read2_b32 v[49:50], v72 offset0:20 offset1:85
	ds_read2_b32 v[51:52], v67 offset0:134 offset1:199
	ds_read2_b32 v[53:54], v71 offset0:16 offset1:81
	ds_read2_b32 v[65:66], v70 offset0:12 offset1:77
	ds_read2_b32 v[73:74], v72 offset0:150 offset1:215
	ds_read2_b32 v[75:76], v69 offset0:8 offset1:73
	ds_read2_b32 v[77:78], v71 offset0:146 offset1:211
	s_waitcnt vmcnt(0) lgkmcnt(0)
	s_barrier
	buffer_gl0_inv
	v_lshrrev_b32_e32 v68, 16, v55
	v_lshrrev_b32_e32 v46, 16, v21
	;; [unrolled: 1-line block ×21, first 2 shown]
	v_mul_f16_sdwa v117, v46, v4 dst_sel:DWORD dst_unused:UNUSED_PAD src0_sel:DWORD src1_sel:WORD_1
	v_mul_f16_sdwa v118, v21, v4 dst_sel:DWORD dst_unused:UNUSED_PAD src0_sel:DWORD src1_sel:WORD_1
	;; [unrolled: 1-line block ×16, first 2 shown]
	v_fma_f16 v117, v21, v4, -v117
	v_fmac_f16_e32 v118, v46, v4
	v_fma_f16 v119, v44, v5, -v119
	v_fmac_f16_e32 v120, v79, v5
	;; [unrolled: 2-line block ×8, first 2 shown]
	v_add_f16_e32 v142, v40, v126
	v_mul_f16_sdwa v48, v86, v16 dst_sel:DWORD dst_unused:UNUSED_PAD src0_sel:DWORD src1_sel:WORD_1
	v_mul_f16_sdwa v83, v52, v16 dst_sel:DWORD dst_unused:UNUSED_PAD src0_sel:DWORD src1_sel:WORD_1
	;; [unrolled: 1-line block ×8, first 2 shown]
	v_fma_f16 v52, v52, v16, -v48
	v_mul_f16_sdwa v125, v110, v8 dst_sel:DWORD dst_unused:UNUSED_PAD src0_sel:DWORD src1_sel:WORD_1
	v_mul_f16_sdwa v127, v75, v8 dst_sel:DWORD dst_unused:UNUSED_PAD src0_sel:DWORD src1_sel:WORD_1
	;; [unrolled: 1-line block ×16, first 2 shown]
	v_fmac_f16_e32 v83, v86, v16
	v_fma_f16 v65, v65, v17, -v49
	v_fmac_f16_e32 v84, v87, v17
	v_fma_f16 v54, v54, v18, -v50
	;; [unrolled: 2-line block ×5, first 2 shown]
	v_fmac_f16_e32 v131, v111, v9
	v_fmac_f16_e32 v134, v112, v10
	;; [unrolled: 1-line block ×3, first 2 shown]
	v_fma_f16 v49, v76, v0, -v137
	v_fma_f16 v47, v47, v1, -v138
	v_fmac_f16_e32 v44, v115, v1
	v_fma_f16 v48, v78, v2, -v139
	v_fmac_f16_e32 v45, v116, v2
	;; [unrolled: 2-line block ×3, first 2 shown]
	v_add_f16_e32 v55, v24, v117
	v_add_f16_e32 v68, v119, v79
	v_sub_f16_e32 v76, v118, v124
	v_sub_f16_e32 v86, v117, v119
	;; [unrolled: 1-line block ×3, first 2 shown]
	v_add_f16_e32 v88, v117, v80
	v_sub_f16_e32 v105, v119, v117
	v_sub_f16_e32 v110, v79, v80
	v_add_f16_e32 v111, v41, v118
	v_add_f16_e32 v112, v120, v122
	v_sub_f16_e32 v113, v117, v80
	v_sub_f16_e32 v115, v118, v120
	;; [unrolled: 1-line block ×3, first 2 shown]
	v_add_f16_e32 v117, v118, v124
	v_sub_f16_e32 v118, v120, v118
	v_sub_f16_e32 v121, v122, v124
	v_add_f16_e32 v125, v25, v51
	v_add_f16_e32 v129, v81, v53
	v_sub_f16_e32 v137, v51, v81
	v_sub_f16_e32 v138, v82, v53
	v_add_f16_e32 v139, v51, v82
	v_sub_f16_e32 v140, v81, v51
	v_sub_f16_e32 v141, v53, v82
	v_add_f16_e32 v143, v128, v130
	v_add_f16_e32 v147, v126, v132
	v_fma_f16 v77, v77, v10, -v133
	v_fmac_f16_e32 v21, v114, v0
	v_sub_f16_e32 v114, v119, v79
	v_sub_f16_e32 v133, v126, v132
	v_sub_f16_e32 v144, v81, v53
	v_sub_f16_e32 v145, v126, v128
	v_sub_f16_e32 v146, v132, v130
	v_sub_f16_e32 v126, v128, v126
	v_sub_f16_e32 v148, v130, v132
	v_add_f16_e32 v55, v55, v119
	v_fma_f16 v68, -0.5, v68, v24
	v_add_f16_e32 v86, v86, v87
	v_fma_f16 v24, -0.5, v88, v24
	v_add_f16_e32 v87, v105, v110
	v_add_f16_e32 v88, v111, v120
	v_fma_f16 v105, -0.5, v112, v41
	v_add_f16_e32 v110, v115, v116
	v_fmac_f16_e32 v41, -0.5, v117
	v_add_f16_e32 v111, v118, v121
	v_add_f16_e32 v81, v125, v81
	v_fma_f16 v112, -0.5, v129, v25
	v_add_f16_e32 v115, v137, v138
	v_fmac_f16_e32 v25, -0.5, v139
	v_add_f16_e32 v116, v140, v141
	v_add_f16_e32 v117, v142, v128
	v_fma_f16 v118, -0.5, v143, v40
	v_fmac_f16_e32 v40, -0.5, v147
	v_add_f16_e32 v121, v22, v52
	v_sub_f16_e32 v129, v52, v65
	v_sub_f16_e32 v137, v73, v54
	;; [unrolled: 1-line block ×4, first 2 shown]
	v_add_f16_e32 v142, v84, v85
	v_add_f16_e32 v147, v83, v123
	;; [unrolled: 1-line block ×3, first 2 shown]
	v_sub_f16_e32 v78, v120, v122
	v_add_f16_e32 v119, v145, v146
	v_add_f16_e32 v120, v126, v148
	;; [unrolled: 1-line block ×3, first 2 shown]
	v_sub_f16_e32 v126, v83, v123
	v_add_f16_e32 v141, v39, v83
	v_sub_f16_e32 v143, v65, v54
	v_sub_f16_e32 v145, v83, v84
	;; [unrolled: 1-line block ×5, first 2 shown]
	v_add_f16_e32 v150, v66, v77
	v_sub_f16_e32 v153, v75, v66
	v_sub_f16_e32 v156, v66, v75
	v_add_f16_e32 v159, v131, v134
	v_sub_f16_e32 v160, v66, v77
	v_add_f16_e32 v163, v127, v136
	v_add_f16_e32 v55, v55, v79
	;; [unrolled: 1-line block ×7, first 2 shown]
	v_fmamk_f16 v117, v76, 0x3b9c, v68
	v_fmac_f16_e32 v68, 0xbb9c, v76
	v_add_f16_e32 v121, v139, v140
	v_fmamk_f16 v137, v114, 0x3b9c, v41
	v_fmac_f16_e32 v41, 0xbb9c, v114
	v_fma_f16 v139, -0.5, v142, v39
	v_fmac_f16_e32 v39, -0.5, v147
	v_add_f16_e32 v66, v149, v66
	v_fma_f16 v74, v74, v11, -v135
	v_sub_f16_e32 v135, v128, v130
	v_sub_f16_e32 v51, v51, v82
	v_sub_f16_e32 v128, v84, v85
	v_add_f16_e32 v138, v52, v73
	v_sub_f16_e32 v52, v52, v73
	v_add_f16_e32 v158, v37, v127
	v_fmamk_f16 v122, v78, 0xbb9c, v24
	v_fmac_f16_e32 v24, 0x3b9c, v78
	v_add_f16_e32 v84, v141, v84
	v_fmamk_f16 v129, v113, 0xbb9c, v105
	v_fmac_f16_e32 v105, 0x3b9c, v113
	v_add_f16_e32 v130, v145, v146
	v_add_f16_e32 v83, v83, v148
	v_fmamk_f16 v146, v144, 0x3b9c, v40
	v_fmac_f16_e32 v40, 0xbb9c, v144
	v_fma_f16 v148, -0.5, v159, v37
	v_fmac_f16_e32 v37, -0.5, v163
	v_fmac_f16_e32 v117, 0x38b4, v78
	v_fmac_f16_e32 v68, 0xb8b4, v78
	;; [unrolled: 1-line block ×4, first 2 shown]
	v_add_f16_e32 v78, v81, v132
	v_fmamk_f16 v81, v143, 0x3b9c, v39
	v_fmac_f16_e32 v39, 0xbb9c, v143
	v_add_f16_e32 v66, v66, v77
	v_sub_f16_e32 v151, v127, v136
	v_sub_f16_e32 v152, v131, v134
	v_sub_f16_e32 v154, v74, v77
	v_add_f16_e32 v155, v75, v74
	v_sub_f16_e32 v157, v77, v74
	v_sub_f16_e32 v75, v75, v74
	;; [unrolled: 1-line block ×5, first 2 shown]
	v_fmamk_f16 v142, v51, 0xbb9c, v118
	v_fmac_f16_e32 v118, 0x3b9c, v51
	v_fma_f16 v125, -0.5, v125, v22
	v_add_f16_e32 v131, v158, v131
	v_add_f16_e32 v55, v55, v80
	v_fmac_f16_e32 v122, 0x38b4, v76
	v_fmac_f16_e32 v24, 0xb8b4, v76
	v_add_f16_e32 v76, v79, v124
	v_fmac_f16_e32 v129, 0xb8b4, v114
	v_fmac_f16_e32 v105, 0x38b4, v114
	;; [unrolled: 1-line block ×4, first 2 shown]
	v_add_f16_e32 v51, v65, v54
	v_add_f16_e32 v79, v84, v85
	v_fmamk_f16 v80, v52, 0xbb9c, v139
	v_fmac_f16_e32 v139, 0x3b9c, v52
	v_fmamk_f16 v114, v160, 0x3b9c, v37
	v_fmac_f16_e32 v137, 0x34f2, v111
	v_fmac_f16_e32 v41, 0x34f2, v111
	;; [unrolled: 1-line block ×4, first 2 shown]
	v_add_f16_e32 v52, v66, v74
	v_add_f16_e32 v74, v47, v48
	v_fmac_f16_e32 v37, 0xbb9c, v160
	v_add_f16_e32 v111, v49, v50
	v_fmamk_f16 v54, v126, 0x3b9c, v125
	v_fmac_f16_e32 v125, 0xbb9c, v126
	v_add_f16_e32 v84, v131, v134
	v_fmac_f16_e32 v122, 0x34f2, v87
	v_fmac_f16_e32 v24, 0x34f2, v87
	v_add_f16_e32 v51, v51, v73
	v_add_f16_e32 v73, v79, v123
	v_fmac_f16_e32 v81, 0x34f2, v83
	v_fmac_f16_e32 v39, 0x34f2, v83
	;; [unrolled: 1-line block ×3, first 2 shown]
	v_add_f16_e32 v79, v127, v164
	v_add_f16_e32 v83, v20, v49
	v_fma_f16 v74, -0.5, v74, v20
	v_sub_f16_e32 v87, v44, v45
	v_fmac_f16_e32 v37, 0x38b4, v75
	v_fmac_f16_e32 v20, -0.5, v111
	v_fmamk_f16 v140, v133, 0x3b9c, v112
	v_fmac_f16_e32 v112, 0xbb9c, v133
	v_fmac_f16_e32 v54, 0x38b4, v128
	;; [unrolled: 1-line block ×3, first 2 shown]
	v_add_f16_e32 v66, v84, v136
	v_sub_f16_e32 v84, v21, v46
	v_fmac_f16_e32 v114, 0x34f2, v79
	v_fmac_f16_e32 v37, 0x34f2, v79
	v_fmamk_f16 v79, v87, 0xbb9c, v20
	v_fmac_f16_e32 v20, 0x3b9c, v87
	v_fmac_f16_e32 v140, 0x38b4, v135
	;; [unrolled: 1-line block ×9, first 2 shown]
	v_add_f16_e32 v83, v83, v47
	v_fmamk_f16 v86, v84, 0x3b9c, v74
	v_sub_f16_e32 v88, v49, v47
	v_sub_f16_e32 v110, v50, v48
	v_fmac_f16_e32 v74, 0xbb9c, v84
	v_add_f16_e32 v111, v27, v21
	v_add_f16_e32 v113, v44, v45
	v_fmac_f16_e32 v79, 0x38b4, v84
	v_fmac_f16_e32 v20, 0xb8b4, v84
	v_add_f16_e32 v84, v21, v46
	v_fmamk_f16 v85, v75, 0xbb9c, v148
	v_fmac_f16_e32 v148, 0x3b9c, v75
	v_fmac_f16_e32 v140, 0x34f2, v115
	;; [unrolled: 1-line block ×3, first 2 shown]
	v_add_f16_e32 v75, v83, v48
	v_fmac_f16_e32 v86, 0x38b4, v87
	v_add_f16_e32 v83, v88, v110
	v_sub_f16_e32 v88, v47, v49
	v_fmac_f16_e32 v74, 0xb8b4, v87
	v_add_f16_e32 v87, v111, v44
	v_fma_f16 v115, -0.5, v113, v27
	v_sub_f16_e32 v47, v47, v48
	v_fmac_f16_e32 v27, -0.5, v84
	v_add_f16_e32 v75, v75, v50
	v_sub_f16_e32 v110, v48, v50
	v_sub_f16_e32 v49, v49, v50
	v_add_f16_e32 v50, v87, v45
	v_sub_f16_e32 v48, v21, v44
	v_sub_f16_e32 v87, v46, v45
	v_fmamk_f16 v84, v47, 0x3b9c, v27
	v_sub_f16_e32 v21, v44, v21
	v_sub_f16_e32 v44, v45, v46
	v_fmac_f16_e32 v27, 0xbb9c, v47
	v_mov_b32_e32 v45, 0x41
	v_fmamk_f16 v141, v135, 0xbb9c, v25
	v_fmac_f16_e32 v25, 0x3b9c, v135
	v_fmac_f16_e32 v84, 0xb8b4, v49
	v_add_f16_e32 v21, v21, v44
	v_fmac_f16_e32 v27, 0x38b4, v49
	v_mul_u32_u24_sdwa v30, v30, v45 dst_sel:DWORD dst_unused:UNUSED_PAD src0_sel:WORD_0 src1_sel:DWORD
	v_fmac_f16_e32 v141, 0x38b4, v133
	v_fmac_f16_e32 v25, 0xb8b4, v133
	;; [unrolled: 1-line block ×4, first 2 shown]
	v_add_nc_u32_sdwa v21, v30, v31 dst_sel:DWORD dst_unused:UNUSED_PAD src0_sel:DWORD src1_sel:BYTE_0
	v_mul_u32_u24_sdwa v28, v28, v45 dst_sel:DWORD dst_unused:UNUSED_PAD src0_sel:WORD_0 src1_sel:DWORD
	v_fma_f16 v22, -0.5, v138, v22
	v_fmac_f16_e32 v142, 0xb8b4, v144
	v_fmac_f16_e32 v141, 0x34f2, v116
	;; [unrolled: 1-line block ×5, first 2 shown]
	v_lshl_add_u32 v111, v21, 2, v104
	v_pack_b32_f16 v21, v55, v76
	v_add_nc_u32_sdwa v28, v28, v29 dst_sel:DWORD dst_unused:UNUSED_PAD src0_sel:DWORD src1_sel:BYTE_0
	v_pack_b32_f16 v29, v117, v129
	v_fma_f16 v138, -0.5, v150, v23
	v_pack_b32_f16 v30, v122, v137
	v_pack_b32_f16 v24, v24, v41
	v_fmac_f16_e32 v23, -0.5, v155
	v_fmamk_f16 v65, v128, 0xbb9c, v22
	v_fmac_f16_e32 v22, 0x3b9c, v128
	v_pack_b32_f16 v31, v68, v105
	v_add_f16_e32 v53, v53, v82
	v_fmac_f16_e32 v118, 0x38b4, v144
	v_fmac_f16_e32 v142, 0x34f2, v119
	v_add_f16_e32 v88, v88, v110
	v_lshl_add_u32 v110, v28, 2, v104
	ds_write2_b32 v111, v21, v29 offset1:13
	ds_write2_b32 v111, v30, v24 offset0:26 offset1:39
	ds_write_b32 v111, v31 offset:208
	v_pack_b32_f16 v24, v141, v146
	v_pack_b32_f16 v25, v25, v40
	v_mad_u16 v29, 0x41, v32, v36
	v_sub_f16_e32 v162, v136, v134
	v_fmamk_f16 v77, v151, 0x3b9c, v138
	v_fmac_f16_e32 v80, 0xb8b4, v143
	v_mul_u32_u24_sdwa v34, v34, v45 dst_sel:DWORD dst_unused:UNUSED_PAD src0_sel:WORD_0 src1_sel:DWORD
	v_fmamk_f16 v82, v152, 0xbb9c, v23
	v_fmac_f16_e32 v23, 0x3b9c, v152
	v_fmac_f16_e32 v65, 0x38b4, v126
	;; [unrolled: 1-line block ×8, first 2 shown]
	v_fmamk_f16 v83, v49, 0xbb9c, v115
	v_pack_b32_f16 v28, v53, v78
	v_pack_b32_f16 v41, v140, v142
	ds_write2_b32 v110, v24, v25 offset0:26 offset1:39
	v_and_b32_e32 v24, 0xffff, v29
	v_add_f16_e32 v145, v153, v154
	v_add_f16_e32 v149, v161, v162
	v_fmac_f16_e32 v77, 0x38b4, v152
	v_fmac_f16_e32 v85, 0xb8b4, v160
	v_fmac_f16_e32 v80, 0x34f2, v130
	v_add_nc_u32_sdwa v21, v34, v38 dst_sel:DWORD dst_unused:UNUSED_PAD src0_sel:DWORD src1_sel:BYTE_0
	v_add_f16_e32 v147, v156, v157
	v_fmac_f16_e32 v82, 0x38b4, v151
	v_fmac_f16_e32 v23, 0xb8b4, v151
	;; [unrolled: 1-line block ×8, first 2 shown]
	v_add_f16_e32 v48, v48, v87
	ds_write2_b32 v110, v28, v41 offset1:13
	v_pack_b32_f16 v28, v112, v118
	v_lshl_add_u32 v113, v24, 2, v104
	v_mad_u16 v24, 0x41, v33, v35
	v_fmac_f16_e32 v77, 0x34f2, v145
	v_fmac_f16_e32 v85, 0x34f2, v149
	v_lshl_add_u32 v112, v21, 2, v104
	v_pack_b32_f16 v21, v51, v73
	v_pack_b32_f16 v30, v54, v80
	v_fmac_f16_e32 v82, 0x34f2, v147
	v_fmac_f16_e32 v23, 0x34f2, v147
	v_pack_b32_f16 v31, v65, v81
	v_pack_b32_f16 v22, v22, v39
	v_fmac_f16_e32 v138, 0x34f2, v145
	v_fmac_f16_e32 v148, 0x34f2, v149
	v_add_f16_e32 v50, v50, v46
	v_fmac_f16_e32 v83, 0x34f2, v48
	ds_write_b32 v110, v28 offset:208
	ds_write2_b32 v112, v21, v30 offset1:13
	ds_write2_b32 v112, v31, v22 offset0:26 offset1:39
	v_pack_b32_f16 v21, v125, v139
	v_and_b32_e32 v24, 0xffff, v24
	v_pack_b32_f16 v22, v52, v66
	v_pack_b32_f16 v25, v77, v85
	v_fmac_f16_e32 v79, 0x34f2, v88
	v_fmac_f16_e32 v20, 0x34f2, v88
	v_pack_b32_f16 v28, v82, v114
	v_pack_b32_f16 v23, v23, v37
	;; [unrolled: 1-line block ×3, first 2 shown]
	ds_write_b32 v112, v21 offset:208
	ds_write2_b32 v113, v22, v25 offset1:13
	ds_write2_b32 v113, v28, v23 offset0:26 offset1:39
	ds_write_b32 v113, v29 offset:208
	v_lshl_add_u32 v114, v24, 2, v104
	v_pack_b32_f16 v21, v75, v50
	v_pack_b32_f16 v22, v86, v83
	v_mov_b32_e32 v24, 0xfc1
	v_pack_b32_f16 v23, v79, v84
	v_pack_b32_f16 v20, v20, v27
	v_mul_lo_u16 v25, 0xfd, v26
	ds_write2_b32 v114, v21, v22 offset1:13
	v_mul_u32_u24_sdwa v21, v63, v24 dst_sel:DWORD dst_unused:UNUSED_PAD src0_sel:WORD_0 src1_sel:DWORD
	v_fmac_f16_e32 v115, 0x3b9c, v49
	ds_write2_b32 v114, v23, v20 offset0:26 offset1:39
	v_lshrrev_b16 v20, 14, v25
	v_mul_u32_u24_sdwa v22, v64, v24 dst_sel:DWORD dst_unused:UNUSED_PAD src0_sel:WORD_0 src1_sel:DWORD
	v_lshrrev_b32_e32 v21, 18, v21
	v_fmac_f16_e32 v115, 0x38b4, v47
	v_lshlrev_b32_e32 v44, 4, v100
	v_mul_lo_u16 v20, 0x41, v20
	v_lshrrev_b32_e32 v22, 18, v22
	v_mul_lo_u16 v21, 0x41, v21
	v_fmac_f16_e32 v115, 0x34f2, v48
	v_sub_nc_u16 v20, v43, v20
	v_sub_nc_u16 v46, v63, v21
	v_pack_b32_f16 v26, v74, v115
	v_and_b32_e32 v47, 0xff, v20
	v_mul_lo_u16 v20, 0x41, v22
	v_lshlrev_b16 v21, 4, v46
	ds_write_b32 v114, v26 offset:208
	s_waitcnt lgkmcnt(0)
	v_lshlrev_b32_e32 v22, 4, v47
	v_sub_nc_u16 v45, v64, v20
	v_and_b32_e32 v20, 0xffff, v21
	s_barrier
	buffer_gl0_inv
	s_clause 0x1
	global_load_dwordx4 v[36:39], v44, s[0:1] offset:208
	global_load_dwordx4 v[28:31], v22, s[0:1] offset:208
	v_lshlrev_b16 v22, 4, v45
	v_add_co_u32 v20, s2, s0, v20
	v_add_co_ci_u32_e64 v21, null, s1, 0, s2
	v_and_b32_e32 v22, 0xffff, v22
	global_load_dwordx4 v[24:27], v[20:21], off offset:208
	v_add_co_u32 v20, s2, s0, v22
	v_add_co_ci_u32_e64 v21, null, s1, 0, s2
	global_load_dwordx4 v[20:23], v[20:21], off offset:208
	ds_read2_b32 v[40:41], v89 offset1:65
	ds_read2_b32 v[32:33], v67 offset0:4 offset1:69
	ds_read2_b32 v[73:74], v69 offset0:138 offset1:203
	;; [unrolled: 1-line block ×11, first 2 shown]
	ds_read_b32 v105, v89 offset:6240
	s_waitcnt vmcnt(0) lgkmcnt(0)
	s_barrier
	buffer_gl0_inv
	v_lshrrev_b32_e32 v52, 16, v40
	v_lshrrev_b32_e32 v66, 16, v33
	;; [unrolled: 1-line block ×25, first 2 shown]
	v_mul_f16_sdwa v135, v66, v36 dst_sel:DWORD dst_unused:UNUSED_PAD src0_sel:DWORD src1_sel:WORD_1
	v_mul_f16_sdwa v137, v68, v37 dst_sel:DWORD dst_unused:UNUSED_PAD src0_sel:DWORD src1_sel:WORD_1
	;; [unrolled: 1-line block ×9, first 2 shown]
	v_fma_f16 v137, v73, v37, -v137
	v_fmac_f16_e32 v140, v117, v38
	v_fma_f16 v117, v33, v36, -v135
	v_fma_f16 v76, v76, v38, -v139
	v_mul_f16_sdwa v144, v79, v36 dst_sel:DWORD dst_unused:UNUSED_PAD src0_sel:DWORD src1_sel:WORD_1
	v_mul_f16_sdwa v145, v120, v37 dst_sel:DWORD dst_unused:UNUSED_PAD src0_sel:DWORD src1_sel:WORD_1
	;; [unrolled: 1-line block ×14, first 2 shown]
	v_fmac_f16_e32 v136, v66, v36
	v_fmac_f16_e32 v138, v68, v37
	;; [unrolled: 1-line block ×3, first 2 shown]
	v_fma_f16 v77, v77, v39, -v141
	v_fma_f16 v79, v79, v36, -v143
	;; [unrolled: 1-line block ×4, first 2 shown]
	v_add_f16_e32 v75, v40, v117
	v_add_f16_e32 v88, v137, v76
	v_mul_f16_sdwa v152, v80, v28 dst_sel:DWORD dst_unused:UNUSED_PAD src0_sel:DWORD src1_sel:WORD_1
	v_mul_f16_sdwa v153, v124, v29 dst_sel:DWORD dst_unused:UNUSED_PAD src0_sel:DWORD src1_sel:WORD_1
	;; [unrolled: 1-line block ×9, first 2 shown]
	v_fma_f16 v74, v74, v37, -v145
	v_fmac_f16_e32 v144, v119, v36
	v_fmac_f16_e32 v146, v120, v37
	v_fmac_f16_e32 v148, v121, v38
	v_fma_f16 v81, v81, v38, -v147
	v_fma_f16 v78, v78, v39, -v149
	v_fmac_f16_e32 v150, v122, v39
	v_fmac_f16_e32 v154, v124, v29
	;; [unrolled: 1-line block ×4, first 2 shown]
	v_fma_f16 v73, v105, v23, -v170
	v_sub_f16_e32 v105, v136, v142
	v_sub_f16_e32 v118, v117, v137
	;; [unrolled: 1-line block ×3, first 2 shown]
	v_add_f16_e32 v120, v117, v77
	v_sub_f16_e32 v121, v137, v117
	v_sub_f16_e32 v122, v76, v77
	v_add_f16_e32 v124, v138, v140
	v_add_f16_e32 v128, v136, v142
	;; [unrolled: 1-line block ×4, first 2 shown]
	v_fma_f16 v88, -0.5, v88, v40
	v_mul_f16_sdwa v151, v123, v28 dst_sel:DWORD dst_unused:UNUSED_PAD src0_sel:DWORD src1_sel:WORD_1
	v_mul_f16_sdwa v155, v125, v30 dst_sel:DWORD dst_unused:UNUSED_PAD src0_sel:DWORD src1_sel:WORD_1
	;; [unrolled: 1-line block ×7, first 2 shown]
	v_fmac_f16_e32 v152, v123, v28
	v_fmac_f16_e32 v156, v125, v30
	;; [unrolled: 1-line block ×5, first 2 shown]
	v_fma_f16 v66, v116, v22, -v169
	v_sub_f16_e32 v116, v138, v140
	v_add_f16_e32 v123, v52, v136
	v_sub_f16_e32 v125, v137, v76
	v_sub_f16_e32 v126, v136, v138
	;; [unrolled: 1-line block ×6, first 2 shown]
	v_add_f16_e32 v118, v118, v119
	v_fma_f16 v40, -0.5, v120, v40
	v_add_f16_e32 v119, v121, v122
	v_fma_f16 v121, -0.5, v124, v52
	v_fmac_f16_e32 v52, -0.5, v128
	v_add_f16_e32 v124, v131, v74
	v_add_f16_e32 v75, v75, v76
	v_fmamk_f16 v76, v105, 0x3b9c, v88
	v_fmac_f16_e32 v88, 0xbb9c, v105
	v_mul_f16_sdwa v165, v130, v27 dst_sel:DWORD dst_unused:UNUSED_PAD src0_sel:DWORD src1_sel:WORD_1
	v_fmac_f16_e32 v166, v130, v27
	v_fmac_f16_e32 v54, v132, v21
	v_sub_f16_e32 v117, v117, v77
	v_sub_f16_e32 v130, v140, v142
	v_add_f16_e32 v132, v74, v81
	v_add_f16_e32 v147, v146, v148
	;; [unrolled: 1-line block ×5, first 2 shown]
	v_fmamk_f16 v131, v116, 0xbb9c, v40
	v_fmac_f16_e32 v40, 0x3b9c, v116
	v_fmamk_f16 v135, v125, 0x3b9c, v52
	v_fmac_f16_e32 v52, 0xbb9c, v125
	v_add_f16_e32 v124, v124, v81
	v_fmac_f16_e32 v76, 0x38b4, v116
	v_fmac_f16_e32 v88, 0xb8b4, v116
	v_fma_f16 v83, v83, v29, -v153
	v_fma_f16 v82, v82, v30, -v155
	v_add_f16_e32 v139, v79, v78
	v_sub_f16_e32 v141, v74, v79
	v_sub_f16_e32 v143, v81, v78
	v_add_f16_e32 v123, v129, v130
	v_fma_f16 v126, -0.5, v132, v41
	v_fma_f16 v130, -0.5, v147, v51
	v_add_f16_e32 v120, v120, v140
	v_fmamk_f16 v132, v117, 0xbb9c, v121
	v_fmac_f16_e32 v121, 0x3b9c, v117
	v_fmac_f16_e32 v131, 0x38b4, v105
	;; [unrolled: 1-line block ×5, first 2 shown]
	v_add_f16_e32 v105, v124, v78
	v_fmac_f16_e32 v76, 0x34f2, v118
	v_fmac_f16_e32 v88, 0x34f2, v118
	v_sub_f16_e32 v78, v79, v78
	v_add_f16_e32 v117, v144, v150
	v_sub_f16_e32 v74, v74, v81
	v_sub_f16_e32 v81, v144, v146
	;; [unrolled: 1-line block ×3, first 2 shown]
	v_fma_f16 v80, v80, v28, -v151
	v_fma_f16 v85, v85, v31, -v157
	v_fmac_f16_e32 v65, v133, v22
	v_sub_f16_e32 v133, v144, v150
	v_add_f16_e32 v145, v51, v144
	v_add_f16_e32 v75, v75, v77
	;; [unrolled: 1-line block ×3, first 2 shown]
	v_fmac_f16_e32 v132, 0xb8b4, v125
	v_fmac_f16_e32 v121, 0x38b4, v125
	;; [unrolled: 1-line block ×4, first 2 shown]
	v_fmamk_f16 v116, v78, 0xbb9c, v130
	v_fmac_f16_e32 v51, -0.5, v117
	v_add_f16_e32 v81, v81, v118
	v_fmac_f16_e32 v130, 0x3b9c, v78
	v_sub_f16_e32 v118, v146, v144
	v_sub_f16_e32 v119, v148, v150
	v_add_f16_e32 v120, v83, v82
	v_fmac_f16_e32 v55, v134, v23
	v_sub_f16_e32 v134, v146, v148
	v_fmamk_f16 v136, v133, 0x3b9c, v126
	v_fmac_f16_e32 v126, 0xbb9c, v133
	v_fmac_f16_e32 v132, 0x34f2, v122
	;; [unrolled: 1-line block ×4, first 2 shown]
	v_fmamk_f16 v117, v74, 0x3b9c, v51
	v_fmac_f16_e32 v130, 0x38b4, v74
	v_add_f16_e32 v118, v118, v119
	v_add_f16_e32 v119, v34, v80
	v_fma_f16 v120, -0.5, v120, v34
	v_sub_f16_e32 v122, v152, v158
	v_fmac_f16_e32 v51, 0xbb9c, v74
	v_add_f16_e32 v125, v80, v85
	v_fmac_f16_e32 v136, 0x38b4, v134
	v_fmac_f16_e32 v126, 0xb8b4, v134
	;; [unrolled: 1-line block ×7, first 2 shown]
	v_add_f16_e32 v74, v119, v83
	v_fmamk_f16 v81, v122, 0x3b9c, v120
	v_sub_f16_e32 v119, v154, v156
	v_sub_f16_e32 v123, v80, v83
	v_sub_f16_e32 v124, v85, v82
	v_fmac_f16_e32 v51, 0x38b4, v78
	v_fma_f16 v34, -0.5, v125, v34
	v_fmac_f16_e32 v120, 0xbb9c, v122
	v_add_f16_e32 v125, v50, v152
	v_fmac_f16_e32 v136, 0x34f2, v127
	v_fmac_f16_e32 v126, 0x34f2, v127
	;; [unrolled: 1-line block ×4, first 2 shown]
	v_add_f16_e32 v78, v123, v124
	v_fmac_f16_e32 v51, 0x34f2, v118
	v_fmamk_f16 v118, v119, 0xbb9c, v34
	v_sub_f16_e32 v123, v83, v80
	v_sub_f16_e32 v124, v82, v85
	v_fmac_f16_e32 v120, 0xb8b4, v119
	v_add_f16_e32 v127, v154, v156
	v_fmac_f16_e32 v34, 0x3b9c, v119
	v_add_f16_e32 v119, v125, v154
	v_fma_f16 v84, v84, v25, -v161
	v_fma_f16 v115, v115, v26, -v163
	v_fmac_f16_e32 v41, -0.5, v139
	v_add_f16_e32 v74, v74, v82
	v_fmac_f16_e32 v81, 0x34f2, v78
	v_fmac_f16_e32 v118, 0x38b4, v122
	v_add_f16_e32 v123, v123, v124
	v_fma_f16 v124, -0.5, v127, v50
	v_sub_f16_e32 v80, v80, v85
	v_fmac_f16_e32 v120, 0x34f2, v78
	v_fmac_f16_e32 v34, 0xb8b4, v122
	v_add_f16_e32 v78, v119, v156
	v_add_f16_e32 v119, v152, v158
	v_sub_f16_e32 v82, v83, v82
	v_sub_f16_e32 v83, v152, v154
	;; [unrolled: 1-line block ×3, first 2 shown]
	v_fma_f16 v87, v87, v24, -v159
	v_fma_f16 v86, v86, v27, -v165
	v_fmamk_f16 v137, v134, 0xbb9c, v41
	v_fmac_f16_e32 v41, 0x3b9c, v134
	v_add_f16_e32 v74, v74, v85
	v_fmac_f16_e32 v118, 0x34f2, v123
	v_fmamk_f16 v85, v80, 0xbb9c, v124
	v_fmac_f16_e32 v34, 0x34f2, v123
	v_fmac_f16_e32 v50, -0.5, v119
	v_add_f16_e32 v83, v83, v122
	v_fmac_f16_e32 v124, 0x3b9c, v80
	v_sub_f16_e32 v122, v154, v152
	v_sub_f16_e32 v123, v156, v158
	v_add_f16_e32 v125, v84, v115
	v_add_f16_e32 v128, v141, v143
	;; [unrolled: 1-line block ×3, first 2 shown]
	v_fmac_f16_e32 v137, 0x38b4, v133
	v_fmac_f16_e32 v41, 0xb8b4, v133
	v_fmac_f16_e32 v85, 0xb8b4, v82
	v_fmamk_f16 v119, v82, 0x3b9c, v50
	v_fmac_f16_e32 v124, 0x38b4, v82
	v_add_f16_e32 v122, v122, v123
	v_add_f16_e32 v123, v35, v87
	v_fma_f16 v125, -0.5, v125, v35
	v_sub_f16_e32 v127, v160, v166
	v_fmac_f16_e32 v50, 0xbb9c, v82
	v_add_f16_e32 v133, v87, v86
	v_fmac_f16_e32 v137, 0x34f2, v128
	v_add_f16_e32 v79, v129, v148
	v_fmac_f16_e32 v41, 0x34f2, v128
	v_fmac_f16_e32 v85, 0x34f2, v83
	;; [unrolled: 1-line block ×4, first 2 shown]
	v_add_f16_e32 v82, v123, v84
	v_fmamk_f16 v83, v127, 0x3b9c, v125
	v_sub_f16_e32 v123, v162, v164
	v_sub_f16_e32 v128, v87, v84
	;; [unrolled: 1-line block ×3, first 2 shown]
	v_fmac_f16_e32 v50, 0x38b4, v80
	v_fmac_f16_e32 v35, -0.5, v133
	v_fmac_f16_e32 v125, 0xbb9c, v127
	v_add_f16_e32 v133, v49, v160
	v_fmac_f16_e32 v119, 0x34f2, v122
	v_add_f16_e32 v80, v82, v115
	;; [unrolled: 2-line block ×3, first 2 shown]
	v_fmac_f16_e32 v50, 0x34f2, v122
	v_fmamk_f16 v122, v123, 0xbb9c, v35
	v_sub_f16_e32 v128, v84, v87
	v_sub_f16_e32 v129, v115, v86
	v_fmac_f16_e32 v125, 0xb8b4, v123
	v_add_f16_e32 v134, v162, v164
	v_fmac_f16_e32 v35, 0x3b9c, v123
	v_add_f16_e32 v123, v133, v162
	v_add_f16_e32 v80, v80, v86
	v_fmac_f16_e32 v83, 0x34f2, v82
	v_fmac_f16_e32 v122, 0x38b4, v127
	v_add_f16_e32 v128, v128, v129
	v_fma_f16 v129, -0.5, v134, v49
	v_sub_f16_e32 v86, v87, v86
	v_fmac_f16_e32 v125, 0x34f2, v82
	v_fmac_f16_e32 v35, 0xb8b4, v127
	v_add_f16_e32 v82, v123, v164
	v_add_f16_e32 v123, v160, v166
	v_sub_f16_e32 v84, v84, v115
	v_sub_f16_e32 v115, v160, v162
	;; [unrolled: 1-line block ×3, first 2 shown]
	v_fmac_f16_e32 v122, 0x34f2, v128
	v_fmamk_f16 v87, v86, 0xbb9c, v129
	v_fmac_f16_e32 v35, 0x34f2, v128
	v_fmac_f16_e32 v49, -0.5, v123
	v_add_f16_e32 v115, v115, v127
	v_fmac_f16_e32 v129, 0x3b9c, v86
	v_sub_f16_e32 v127, v162, v160
	v_sub_f16_e32 v128, v164, v166
	v_add_f16_e32 v133, v33, v66
	v_fmac_f16_e32 v87, 0xb8b4, v84
	v_fmamk_f16 v123, v84, 0x3b9c, v49
	v_fmac_f16_e32 v129, 0x38b4, v84
	v_add_f16_e32 v127, v127, v128
	v_fmac_f16_e32 v49, 0xbb9c, v84
	v_add_f16_e32 v84, v32, v68
	v_fma_f16 v128, -0.5, v133, v32
	v_sub_f16_e32 v133, v53, v55
	v_fmac_f16_e32 v87, 0x34f2, v115
	v_fmac_f16_e32 v123, 0xb8b4, v86
	;; [unrolled: 1-line block ×4, first 2 shown]
	v_add_f16_e32 v84, v84, v33
	v_fmamk_f16 v86, v133, 0x3b9c, v128
	v_sub_f16_e32 v115, v54, v65
	v_sub_f16_e32 v134, v68, v33
	;; [unrolled: 1-line block ×3, first 2 shown]
	v_fmac_f16_e32 v128, 0xbb9c, v133
	v_add_f16_e32 v139, v68, v73
	v_add_f16_e32 v84, v84, v66
	v_fmac_f16_e32 v86, 0x38b4, v115
	v_add_f16_e32 v134, v134, v138
	v_fmac_f16_e32 v128, 0xb8b4, v115
	v_fmac_f16_e32 v32, -0.5, v139
	v_sub_f16_e32 v138, v33, v68
	v_sub_f16_e32 v139, v66, v73
	v_fmac_f16_e32 v123, 0x34f2, v127
	v_fmac_f16_e32 v49, 0x34f2, v127
	v_add_f16_e32 v84, v84, v73
	v_fmac_f16_e32 v86, 0x34f2, v134
	v_fmac_f16_e32 v128, 0x34f2, v134
	v_fmamk_f16 v127, v115, 0xbb9c, v32
	v_add_f16_e32 v134, v54, v65
	v_fmac_f16_e32 v32, 0x3b9c, v115
	v_sub_f16_e32 v68, v68, v73
	v_add_f16_e32 v73, v138, v139
	v_add_f16_e32 v138, v53, v55
	;; [unrolled: 1-line block ×3, first 2 shown]
	v_fma_f16 v134, -0.5, v134, v48
	v_fmac_f16_e32 v127, 0x38b4, v133
	v_fmac_f16_e32 v32, 0xb8b4, v133
	v_sub_f16_e32 v33, v33, v66
	v_fmac_f16_e32 v48, -0.5, v138
	v_add_f16_e32 v115, v115, v54
	v_fmamk_f16 v133, v68, 0xbb9c, v134
	v_fmac_f16_e32 v127, 0x34f2, v73
	v_fmac_f16_e32 v32, 0x34f2, v73
	v_sub_f16_e32 v73, v53, v54
	v_fmac_f16_e32 v134, 0x3b9c, v68
	v_fmamk_f16 v138, v33, 0x3b9c, v48
	v_sub_f16_e32 v53, v54, v53
	v_sub_f16_e32 v54, v65, v55
	v_fmac_f16_e32 v48, 0xbb9c, v33
	v_add_f16_e32 v66, v115, v65
	v_sub_f16_e32 v115, v55, v65
	v_fmac_f16_e32 v133, 0xb8b4, v33
	v_fmac_f16_e32 v134, 0x38b4, v33
	;; [unrolled: 1-line block ×3, first 2 shown]
	v_add_f16_e32 v33, v53, v54
	v_fmac_f16_e32 v48, 0x38b4, v68
	v_add_f16_e32 v79, v79, v150
	v_add_f16_e32 v53, v66, v55
	v_pack_b32_f16 v54, v75, v77
	v_pack_b32_f16 v55, v76, v132
	v_add_f16_e32 v65, v73, v115
	v_fmac_f16_e32 v138, 0x34f2, v33
	v_fmac_f16_e32 v48, 0x34f2, v33
	v_pack_b32_f16 v33, v131, v135
	v_pack_b32_f16 v40, v40, v52
	ds_write2_b32 v89, v54, v55 offset1:65
	v_pack_b32_f16 v52, v88, v121
	v_pack_b32_f16 v54, v105, v79
	v_fmac_f16_e32 v133, 0x34f2, v65
	v_fmac_f16_e32 v134, 0x34f2, v65
	v_pack_b32_f16 v55, v136, v116
	v_pack_b32_f16 v65, v137, v117
	v_add_f16_e32 v78, v78, v158
	v_pack_b32_f16 v41, v41, v51
	v_pack_b32_f16 v51, v126, v130
	v_lshl_add_u32 v115, v47, 2, v104
	ds_write2_b32 v89, v33, v40 offset0:130 offset1:195
	ds_write2_b32 v67, v52, v54 offset0:4 offset1:69
	;; [unrolled: 1-line block ×3, first 2 shown]
	v_and_b32_e32 v40, 0xffff, v46
	v_pack_b32_f16 v33, v74, v78
	ds_write2_b32 v69, v41, v51 offset0:8 offset1:73
	v_pack_b32_f16 v41, v81, v85
	v_add_nc_u32_e32 v46, 0x800, v115
	v_pack_b32_f16 v47, v118, v119
	v_pack_b32_f16 v34, v34, v50
	v_lshl_add_u32 v116, v40, 2, v104
	v_add_nc_u32_e32 v40, 0xc00, v115
	ds_write2_b32 v46, v33, v41 offset0:138 offset1:203
	ds_write2_b32 v40, v47, v34 offset0:12 offset1:77
	v_and_b32_e32 v33, 0xffff, v45
	v_add_f16_e32 v82, v82, v166
	v_pack_b32_f16 v50, v120, v124
	v_pack_b32_f16 v34, v122, v123
	;; [unrolled: 1-line block ×3, first 2 shown]
	v_lshl_add_u32 v117, v33, 2, v104
	v_add_nc_u32_e32 v33, 0x1000, v116
	v_pack_b32_f16 v51, v80, v82
	v_pack_b32_f16 v52, v83, v87
	v_add_nc_u32_e32 v54, 0xe00, v116
	v_pack_b32_f16 v40, v125, v129
	v_pack_b32_f16 v41, v84, v53
	;; [unrolled: 1-line block ×3, first 2 shown]
	v_add_nc_u32_e32 v46, 0x1400, v117
	v_pack_b32_f16 v47, v127, v138
	v_pack_b32_f16 v32, v32, v48
	;; [unrolled: 1-line block ×3, first 2 shown]
	ds_write_b32 v115, v50 offset:3640
	ds_write2_b32 v54, v51, v52 offset0:79 offset1:144
	ds_write2_b32 v33, v34, v35 offset0:81 offset1:146
	ds_write_b32 v116, v40 offset:4940
	ds_write2_b32 v46, v41, v45 offset0:20 offset1:85
	ds_write2_b32 v46, v47, v32 offset0:150 offset1:215
	ds_write_b32 v117, v48 offset:6240
	v_lshlrev_b32_e32 v32, 4, v42
	s_waitcnt lgkmcnt(0)
	s_barrier
	buffer_gl0_inv
	s_clause 0x1
	global_load_dwordx4 v[48:51], v44, s[0:1] offset:1248
	global_load_dwordx4 v[52:55], v32, s[0:1] offset:1248
	v_lshlrev_b32_e32 v32, 4, v43
	global_load_dwordx4 v[44:47], v32, s[0:1] offset:1248
	v_lshlrev_b32_e32 v32, 4, v63
	;; [unrolled: 2-line block ×3, first 2 shown]
	global_load_dwordx4 v[32:35], v32, s[0:1] offset:1248
	ds_read2_b32 v[63:64], v89 offset1:65
	ds_read2_b32 v[65:66], v67 offset0:4 offset1:69
	ds_read2_b32 v[73:74], v69 offset0:138 offset1:203
	;; [unrolled: 1-line block ×11, first 2 shown]
	ds_read_b32 v105, v89 offset:6240
	s_waitcnt lgkmcnt(12)
	v_lshrrev_b32_e32 v78, 16, v63
	s_waitcnt lgkmcnt(11)
	v_lshrrev_b32_e32 v118, 16, v66
	;; [unrolled: 2-line block ×5, first 2 shown]
	v_lshrrev_b32_e32 v128, 16, v80
	s_waitcnt lgkmcnt(7)
	v_lshrrev_b32_e32 v129, 16, v82
	s_waitcnt lgkmcnt(6)
	;; [unrolled: 2-line block ×5, first 2 shown]
	v_lshrrev_b32_e32 v133, 16, v69
	v_lshrrev_b32_e32 v134, 16, v86
	s_waitcnt lgkmcnt(1)
	v_lshrrev_b32_e32 v135, 16, v71
	v_lshrrev_b32_e32 v127, 16, v83
	v_lshrrev_b32_e32 v136, 16, v88
	v_lshrrev_b32_e32 v137, 16, v70
	v_lshrrev_b32_e32 v138, 16, v75
	v_lshrrev_b32_e32 v125, 16, v81
	v_lshrrev_b32_e32 v139, 16, v72
	v_lshrrev_b32_e32 v126, 16, v74
	s_waitcnt lgkmcnt(0)
	v_lshrrev_b32_e32 v140, 16, v105
	v_lshrrev_b32_e32 v77, 16, v64
	;; [unrolled: 1-line block ×5, first 2 shown]
	s_waitcnt vmcnt(4)
	v_mul_f16_sdwa v142, v66, v48 dst_sel:DWORD dst_unused:UNUSED_PAD src0_sel:DWORD src1_sel:WORD_1
	v_mul_f16_sdwa v147, v124, v51 dst_sel:DWORD dst_unused:UNUSED_PAD src0_sel:DWORD src1_sel:WORD_1
	;; [unrolled: 1-line block ×3, first 2 shown]
	s_waitcnt vmcnt(3)
	v_mul_f16_sdwa v155, v128, v55 dst_sel:DWORD dst_unused:UNUSED_PAD src0_sel:DWORD src1_sel:WORD_1
	v_mul_f16_sdwa v156, v80, v55 dst_sel:DWORD dst_unused:UNUSED_PAD src0_sel:DWORD src1_sel:WORD_1
	;; [unrolled: 1-line block ×3, first 2 shown]
	v_fmac_f16_e32 v142, v118, v48
	s_waitcnt vmcnt(2)
	v_mul_f16_sdwa v158, v82, v44 dst_sel:DWORD dst_unused:UNUSED_PAD src0_sel:DWORD src1_sel:WORD_1
	v_mul_f16_sdwa v160, v85, v45 dst_sel:DWORD dst_unused:UNUSED_PAD src0_sel:DWORD src1_sel:WORD_1
	;; [unrolled: 1-line block ×4, first 2 shown]
	v_fma_f16 v118, v79, v51, -v147
	v_fmac_f16_e32 v148, v124, v51
	v_fma_f16 v124, v80, v55, -v155
	v_fmac_f16_e32 v156, v128, v55
	v_fmac_f16_e32 v158, v129, v44
	;; [unrolled: 1-line block ×3, first 2 shown]
	v_mul_f16_sdwa v128, v84, v46 dst_sel:DWORD dst_unused:UNUSED_PAD src0_sel:DWORD src1_sel:WORD_1
	v_mul_f16_sdwa v79, v132, v47 dst_sel:DWORD dst_unused:UNUSED_PAD src0_sel:DWORD src1_sel:WORD_1
	;; [unrolled: 1-line block ×3, first 2 shown]
	s_waitcnt vmcnt(1)
	v_mul_f16_sdwa v80, v133, v40 dst_sel:DWORD dst_unused:UNUSED_PAD src0_sel:DWORD src1_sel:WORD_1
	v_mul_f16_sdwa v130, v69, v40 dst_sel:DWORD dst_unused:UNUSED_PAD src0_sel:DWORD src1_sel:WORD_1
	;; [unrolled: 1-line block ×5, first 2 shown]
	v_fmac_f16_e32 v128, v131, v46
	v_fma_f16 v131, v87, v47, -v79
	v_fmac_f16_e32 v129, v132, v47
	v_fma_f16 v132, v69, v40, -v80
	v_fmac_f16_e32 v130, v133, v40
	v_mul_f16_sdwa v69, v134, v41 dst_sel:DWORD dst_unused:UNUSED_PAD src0_sel:DWORD src1_sel:WORD_1
	v_mul_f16_sdwa v133, v86, v41 dst_sel:DWORD dst_unused:UNUSED_PAD src0_sel:DWORD src1_sel:WORD_1
	;; [unrolled: 1-line block ×6, first 2 shown]
	v_fma_f16 v66, v66, v48, -v141
	v_fma_f16 v73, v73, v49, -v143
	;; [unrolled: 1-line block ×3, first 2 shown]
	v_mul_f16_sdwa v141, v71, v42 dst_sel:DWORD dst_unused:UNUSED_PAD src0_sel:DWORD src1_sel:WORD_1
	v_mul_f16_sdwa v80, v136, v43 dst_sel:DWORD dst_unused:UNUSED_PAD src0_sel:DWORD src1_sel:WORD_1
	v_fma_f16 v143, v86, v41, -v69
	v_fmac_f16_e32 v133, v134, v41
	v_fma_f16 v134, v71, v42, -v79
	s_waitcnt vmcnt(0)
	v_mul_f16_sdwa v69, v137, v32 dst_sel:DWORD dst_unused:UNUSED_PAD src0_sel:DWORD src1_sel:WORD_1
	v_mul_f16_sdwa v71, v138, v33 dst_sel:DWORD dst_unused:UNUSED_PAD src0_sel:DWORD src1_sel:WORD_1
	;; [unrolled: 1-line block ×5, first 2 shown]
	v_fmac_f16_e32 v146, v120, v50
	v_fma_f16 v120, v83, v54, -v153
	v_fmac_f16_e32 v141, v135, v42
	v_fma_f16 v135, v88, v43, -v80
	v_mul_f16_sdwa v79, v70, v32 dst_sel:DWORD dst_unused:UNUSED_PAD src0_sel:DWORD src1_sel:WORD_1
	v_mul_f16_sdwa v80, v75, v33 dst_sel:DWORD dst_unused:UNUSED_PAD src0_sel:DWORD src1_sel:WORD_1
	v_fma_f16 v86, v70, v32, -v69
	v_fma_f16 v83, v75, v33, -v71
	v_add_f16_e32 v69, v73, v76
	v_mul_f16_sdwa v70, v139, v34 dst_sel:DWORD dst_unused:UNUSED_PAD src0_sel:DWORD src1_sel:WORD_1
	v_add_f16_e32 v75, v63, v66
	v_mul_f16_sdwa v150, v81, v52 dst_sel:DWORD dst_unused:UNUSED_PAD src0_sel:DWORD src1_sel:WORD_1
	v_mul_f16_sdwa v151, v126, v53 dst_sel:DWORD dst_unused:UNUSED_PAD src0_sel:DWORD src1_sel:WORD_1
	v_fmac_f16_e32 v144, v119, v49
	v_fma_f16 v119, v81, v52, -v149
	v_fmac_f16_e32 v152, v126, v53
	v_fma_f16 v126, v85, v45, -v159
	v_mul_f16_sdwa v145, v88, v43 dst_sel:DWORD dst_unused:UNUSED_PAD src0_sel:DWORD src1_sel:WORD_1
	v_mul_f16_sdwa v71, v140, v35 dst_sel:DWORD dst_unused:UNUSED_PAD src0_sel:DWORD src1_sel:WORD_1
	v_fma_f16 v81, -0.5, v69, v63
	v_sub_f16_e32 v69, v142, v148
	v_fma_f16 v88, v72, v34, -v70
	v_add_f16_e32 v70, v75, v73
	v_add_f16_e32 v85, v66, v118
	v_fmac_f16_e32 v150, v125, v52
	v_fmac_f16_e32 v154, v127, v54
	v_fma_f16 v125, v82, v44, -v157
	v_fma_f16 v127, v84, v46, -v161
	v_fmac_f16_e32 v145, v136, v43
	v_fmac_f16_e32 v79, v137, v32
	v_mul_f16_sdwa v84, v72, v34 dst_sel:DWORD dst_unused:UNUSED_PAD src0_sel:DWORD src1_sel:WORD_1
	v_fma_f16 v136, v105, v35, -v71
	v_fmamk_f16 v82, v69, 0x3b9c, v81
	v_sub_f16_e32 v71, v144, v146
	v_sub_f16_e32 v72, v66, v73
	;; [unrolled: 1-line block ×3, first 2 shown]
	v_add_f16_e32 v70, v70, v76
	v_fma_f16 v63, -0.5, v85, v63
	v_fmac_f16_e32 v81, 0xbb9c, v69
	v_add_f16_e32 v137, v78, v142
	v_fmac_f16_e32 v80, v138, v33
	v_fmac_f16_e32 v82, 0x38b4, v71
	v_add_f16_e32 v72, v72, v75
	v_add_f16_e32 v87, v70, v118
	v_fmamk_f16 v85, v71, 0xbb9c, v63
	v_sub_f16_e32 v70, v73, v66
	v_sub_f16_e32 v75, v76, v118
	v_fmac_f16_e32 v81, 0xb8b4, v71
	v_add_f16_e32 v138, v144, v146
	v_fmac_f16_e32 v63, 0x3b9c, v71
	v_add_f16_e32 v71, v137, v144
	;; [unrolled: 2-line block ×3, first 2 shown]
	v_fma_f16 v137, -0.5, v138, v78
	v_sub_f16_e32 v66, v66, v118
	v_fmac_f16_e32 v63, 0xb8b4, v69
	v_add_f16_e32 v69, v71, v146
	v_add_f16_e32 v71, v142, v148
	v_fmac_f16_e32 v82, 0x34f2, v72
	v_fmac_f16_e32 v81, 0x34f2, v72
	;; [unrolled: 1-line block ×3, first 2 shown]
	v_fmamk_f16 v118, v66, 0xbb9c, v137
	v_sub_f16_e32 v72, v73, v76
	v_sub_f16_e32 v73, v142, v144
	;; [unrolled: 1-line block ×3, first 2 shown]
	v_fmac_f16_e32 v63, 0x34f2, v70
	v_fmac_f16_e32 v78, -0.5, v71
	v_fmac_f16_e32 v137, 0x3b9c, v66
	v_sub_f16_e32 v70, v144, v142
	v_sub_f16_e32 v71, v146, v148
	v_fma_f16 v74, v74, v53, -v151
	v_add_f16_e32 v138, v69, v148
	v_fmac_f16_e32 v118, 0xb8b4, v72
	v_add_f16_e32 v69, v73, v75
	v_fmac_f16_e32 v137, 0x38b4, v72
	v_add_f16_e32 v70, v70, v71
	v_add_f16_e32 v71, v64, v119
	v_fmac_f16_e32 v84, v139, v34
	v_mul_f16_sdwa v105, v105, v35 dst_sel:DWORD dst_unused:UNUSED_PAD src0_sel:DWORD src1_sel:WORD_1
	v_fmamk_f16 v139, v72, 0x3b9c, v78
	v_fmac_f16_e32 v118, 0x34f2, v69
	v_add_f16_e32 v73, v74, v120
	v_fmac_f16_e32 v137, 0x34f2, v69
	v_fmac_f16_e32 v78, 0xbb9c, v72
	v_add_f16_e32 v69, v71, v74
	v_fmac_f16_e32 v105, v140, v35
	v_fmac_f16_e32 v139, 0xb8b4, v66
	v_fma_f16 v140, -0.5, v73, v64
	v_sub_f16_e32 v73, v150, v156
	v_sub_f16_e32 v72, v119, v74
	;; [unrolled: 1-line block ×3, first 2 shown]
	v_fmac_f16_e32 v78, 0x38b4, v66
	v_add_f16_e32 v66, v69, v120
	v_fmac_f16_e32 v139, 0x34f2, v70
	v_fmamk_f16 v142, v73, 0x3b9c, v140
	v_sub_f16_e32 v71, v152, v154
	v_add_f16_e32 v76, v119, v124
	v_add_f16_e32 v69, v72, v75
	v_fmac_f16_e32 v78, 0x34f2, v70
	v_add_f16_e32 v144, v66, v124
	v_fmac_f16_e32 v140, 0xbb9c, v73
	v_sub_f16_e32 v66, v74, v119
	v_sub_f16_e32 v70, v120, v124
	v_add_f16_e32 v72, v77, v150
	v_fmac_f16_e32 v142, 0x38b4, v71
	v_fmac_f16_e32 v64, -0.5, v76
	v_fmac_f16_e32 v140, 0xb8b4, v71
	v_add_f16_e32 v75, v152, v154
	v_add_f16_e32 v66, v66, v70
	;; [unrolled: 1-line block ×3, first 2 shown]
	v_fmac_f16_e32 v142, 0x34f2, v69
	v_fmamk_f16 v146, v71, 0xbb9c, v64
	v_fmac_f16_e32 v64, 0x3b9c, v71
	v_fma_f16 v147, -0.5, v75, v77
	v_sub_f16_e32 v71, v119, v124
	v_fmac_f16_e32 v140, 0x34f2, v69
	v_add_f16_e32 v69, v70, v154
	v_add_f16_e32 v70, v150, v156
	v_fmac_f16_e32 v146, 0x38b4, v73
	v_fmac_f16_e32 v64, 0xb8b4, v73
	v_fmamk_f16 v119, v71, 0xbb9c, v147
	v_sub_f16_e32 v72, v74, v120
	v_sub_f16_e32 v73, v150, v152
	v_sub_f16_e32 v74, v156, v154
	v_fmac_f16_e32 v77, -0.5, v70
	v_add_f16_e32 v120, v69, v156
	v_fmac_f16_e32 v147, 0x3b9c, v71
	v_sub_f16_e32 v69, v152, v150
	v_sub_f16_e32 v70, v154, v156
	v_fmac_f16_e32 v146, 0x34f2, v66
	v_fmac_f16_e32 v64, 0x34f2, v66
	;; [unrolled: 1-line block ×3, first 2 shown]
	v_add_f16_e32 v66, v73, v74
	v_fmac_f16_e32 v147, 0x38b4, v72
	v_add_f16_e32 v74, v69, v70
	v_add_f16_e32 v69, v67, v125
	v_fmamk_f16 v148, v72, 0x3b9c, v77
	v_fmac_f16_e32 v119, 0x34f2, v66
	v_add_f16_e32 v73, v126, v127
	v_fmac_f16_e32 v147, 0x34f2, v66
	v_fmac_f16_e32 v77, 0xbb9c, v72
	v_add_f16_e32 v66, v69, v126
	v_fmac_f16_e32 v148, 0xb8b4, v71
	v_fma_f16 v70, -0.5, v73, v67
	v_sub_f16_e32 v73, v158, v129
	v_sub_f16_e32 v69, v125, v126
	;; [unrolled: 1-line block ×3, first 2 shown]
	v_add_f16_e32 v76, v125, v131
	v_fmac_f16_e32 v77, 0x38b4, v71
	v_add_f16_e32 v66, v66, v127
	v_fmac_f16_e32 v148, 0x34f2, v74
	v_fmamk_f16 v149, v73, 0x3b9c, v70
	v_sub_f16_e32 v72, v160, v128
	v_add_f16_e32 v71, v69, v75
	v_fma_f16 v69, -0.5, v76, v67
	v_fmac_f16_e32 v77, 0x34f2, v74
	v_add_f16_e32 v150, v66, v131
	v_fmac_f16_e32 v70, 0xbb9c, v73
	v_sub_f16_e32 v66, v126, v125
	v_sub_f16_e32 v67, v127, v131
	v_add_f16_e32 v74, v121, v158
	v_add_f16_e32 v75, v160, v128
	v_fmac_f16_e32 v149, 0x38b4, v72
	v_fmamk_f16 v151, v72, 0xbb9c, v69
	v_fmac_f16_e32 v70, 0xb8b4, v72
	v_add_f16_e32 v66, v66, v67
	v_fmac_f16_e32 v69, 0x3b9c, v72
	v_add_f16_e32 v67, v74, v160
	v_fma_f16 v124, -0.5, v75, v121
	v_sub_f16_e32 v72, v125, v131
	v_fmac_f16_e32 v149, 0x34f2, v71
	v_fmac_f16_e32 v151, 0x38b4, v73
	;; [unrolled: 1-line block ×4, first 2 shown]
	v_add_f16_e32 v67, v67, v128
	v_fmamk_f16 v152, v72, 0xbb9c, v124
	v_add_f16_e32 v71, v158, v129
	v_sub_f16_e32 v73, v126, v127
	v_sub_f16_e32 v74, v158, v160
	;; [unrolled: 1-line block ×3, first 2 shown]
	v_fmac_f16_e32 v124, 0x3b9c, v72
	v_fmac_f16_e32 v151, 0x34f2, v66
	;; [unrolled: 1-line block ×3, first 2 shown]
	v_fmac_f16_e32 v121, -0.5, v71
	v_add_f16_e32 v153, v67, v129
	v_fmac_f16_e32 v152, 0xb8b4, v73
	v_add_f16_e32 v66, v74, v75
	v_sub_f16_e32 v67, v160, v158
	v_sub_f16_e32 v71, v128, v129
	v_add_f16_e32 v74, v143, v134
	v_fmac_f16_e32 v124, 0x38b4, v73
	v_add_f16_e32 v75, v68, v132
	v_fmamk_f16 v154, v73, 0x3b9c, v121
	v_fmac_f16_e32 v152, 0x34f2, v66
	v_add_f16_e32 v67, v67, v71
	v_fma_f16 v71, -0.5, v74, v68
	v_sub_f16_e32 v76, v130, v145
	v_fmac_f16_e32 v124, 0x34f2, v66
	v_fmac_f16_e32 v121, 0xbb9c, v73
	v_add_f16_e32 v66, v75, v143
	v_add_f16_e32 v126, v132, v135
	v_fmac_f16_e32 v154, 0xb8b4, v72
	v_fmamk_f16 v74, v76, 0x3b9c, v71
	v_sub_f16_e32 v75, v133, v141
	v_sub_f16_e32 v73, v132, v143
	;; [unrolled: 1-line block ×3, first 2 shown]
	v_fmac_f16_e32 v121, 0x38b4, v72
	v_add_f16_e32 v66, v66, v134
	v_fmac_f16_e32 v68, -0.5, v126
	v_fmac_f16_e32 v71, 0xbb9c, v76
	v_add_f16_e32 v126, v123, v130
	v_fmac_f16_e32 v154, 0x34f2, v67
	v_fmac_f16_e32 v74, 0x38b4, v75
	v_add_f16_e32 v72, v73, v125
	v_fmac_f16_e32 v121, 0x34f2, v67
	v_add_f16_e32 v73, v66, v135
	v_fmamk_f16 v67, v75, 0xbb9c, v68
	v_sub_f16_e32 v66, v143, v132
	v_sub_f16_e32 v125, v134, v135
	v_fmac_f16_e32 v71, 0xb8b4, v75
	v_add_f16_e32 v127, v133, v141
	v_fmac_f16_e32 v68, 0x3b9c, v75
	v_add_f16_e32 v75, v126, v133
	v_fmac_f16_e32 v74, 0x34f2, v72
	v_fmac_f16_e32 v67, 0x38b4, v76
	v_add_f16_e32 v66, v66, v125
	v_fma_f16 v125, -0.5, v127, v123
	v_sub_f16_e32 v129, v132, v135
	v_fmac_f16_e32 v71, 0x34f2, v72
	v_fmac_f16_e32 v68, 0xb8b4, v76
	v_add_f16_e32 v72, v75, v141
	v_add_f16_e32 v75, v130, v145
	v_fmac_f16_e32 v67, 0x34f2, v66
	v_fmamk_f16 v126, v129, 0xbb9c, v125
	v_sub_f16_e32 v76, v143, v134
	v_sub_f16_e32 v127, v130, v133
	;; [unrolled: 1-line block ×3, first 2 shown]
	v_fmac_f16_e32 v68, 0x34f2, v66
	v_fmac_f16_e32 v123, -0.5, v75
	v_fmac_f16_e32 v125, 0x3b9c, v129
	v_sub_f16_e32 v66, v133, v130
	v_sub_f16_e32 v75, v141, v145
	v_add_f16_e32 v130, v83, v88
	v_add_f16_e32 v128, v72, v145
	v_fmac_f16_e32 v126, 0xb8b4, v76
	v_add_f16_e32 v72, v127, v131
	v_fmamk_f16 v127, v76, 0x3b9c, v123
	v_fmac_f16_e32 v125, 0x38b4, v76
	v_add_f16_e32 v131, v66, v75
	v_fmac_f16_e32 v123, 0xbb9c, v76
	v_add_f16_e32 v75, v65, v86
	v_fma_f16 v66, -0.5, v130, v65
	v_sub_f16_e32 v130, v79, v105
	v_fmac_f16_e32 v126, 0x34f2, v72
	v_fmac_f16_e32 v127, 0xb8b4, v129
	;; [unrolled: 1-line block ×4, first 2 shown]
	v_add_f16_e32 v72, v75, v83
	v_fmamk_f16 v75, v130, 0x3b9c, v66
	v_sub_f16_e32 v129, v80, v84
	v_sub_f16_e32 v76, v86, v83
	;; [unrolled: 1-line block ×3, first 2 shown]
	v_fmac_f16_e32 v66, 0xbb9c, v130
	v_add_f16_e32 v133, v86, v136
	v_fmac_f16_e32 v127, 0x34f2, v131
	v_fmac_f16_e32 v75, 0x38b4, v129
	v_add_f16_e32 v76, v76, v132
	v_fmac_f16_e32 v66, 0xb8b4, v129
	v_fmac_f16_e32 v65, -0.5, v133
	v_fmac_f16_e32 v123, 0x34f2, v131
	v_add_f16_e32 v131, v122, v79
	v_add_f16_e32 v132, v80, v84
	v_sub_f16_e32 v133, v83, v86
	v_sub_f16_e32 v134, v88, v136
	v_fmac_f16_e32 v75, 0x34f2, v76
	v_fmac_f16_e32 v66, 0x34f2, v76
	v_fmamk_f16 v76, v129, 0xbb9c, v65
	v_fmac_f16_e32 v65, 0x3b9c, v129
	v_add_f16_e32 v131, v131, v80
	v_fma_f16 v129, -0.5, v132, v122
	v_add_f16_e32 v132, v133, v134
	v_add_f16_e32 v133, v79, v105
	v_sub_f16_e32 v86, v86, v136
	v_fmac_f16_e32 v76, 0x38b4, v130
	v_fmac_f16_e32 v65, 0xb8b4, v130
	v_add_f16_e32 v131, v131, v84
	v_sub_f16_e32 v83, v83, v88
	v_fmac_f16_e32 v122, -0.5, v133
	v_add_f16_e32 v72, v72, v88
	v_fmamk_f16 v130, v86, 0xbb9c, v129
	v_sub_f16_e32 v88, v79, v80
	v_sub_f16_e32 v133, v105, v84
	v_fmac_f16_e32 v129, 0x3b9c, v86
	v_fmac_f16_e32 v76, 0x34f2, v132
	;; [unrolled: 1-line block ×3, first 2 shown]
	v_add_f16_e32 v132, v131, v105
	v_fmamk_f16 v131, v83, 0x3b9c, v122
	v_sub_f16_e32 v79, v80, v79
	v_sub_f16_e32 v80, v84, v105
	v_fmac_f16_e32 v122, 0xbb9c, v83
	v_fmac_f16_e32 v130, 0xb8b4, v83
	v_add_f16_e32 v84, v88, v133
	v_fmac_f16_e32 v129, 0x38b4, v83
	v_lshl_add_u32 v105, v100, 2, v104
	v_fmac_f16_e32 v131, 0xb8b4, v86
	v_add_f16_e32 v79, v79, v80
	v_fmac_f16_e32 v122, 0x38b4, v86
	v_pack_b32_f16 v80, v87, v138
	v_fmac_f16_e32 v130, 0x34f2, v84
	v_fmac_f16_e32 v129, 0x34f2, v84
	v_pack_b32_f16 v82, v82, v118
	v_pack_b32_f16 v63, v63, v78
	;; [unrolled: 1-line block ×4, first 2 shown]
	v_add_nc_u32_e32 v81, 0x400, v105
	v_fmac_f16_e32 v131, 0x34f2, v79
	v_fmac_f16_e32 v122, 0x34f2, v79
	v_pack_b32_f16 v83, v85, v139
	v_pack_b32_f16 v85, v146, v148
	v_add_nc_u32_e32 v79, 0x800, v105
	v_pack_b32_f16 v64, v64, v77
	v_add_nc_u32_e32 v77, 0xe00, v105
	ds_write_b32 v89, v80
	v_pack_b32_f16 v86, v140, v147
	v_add_nc_u32_e32 v80, 0x1400, v105
	v_pack_b32_f16 v87, v144, v120
	ds_write2_b32 v81, v82, v84 offset0:69 offset1:134
	ds_write2_b32 v79, v83, v85 offset0:138 offset1:203
	;; [unrolled: 1-line block ×4, first 2 shown]
	v_pack_b32_f16 v63, v150, v153
	v_pack_b32_f16 v64, v149, v152
	v_pack_b32_f16 v77, v151, v154
	v_pack_b32_f16 v78, v69, v121
	v_pack_b32_f16 v82, v70, v124
	v_add_f16_e32 v72, v72, v136
	ds_write2_b32 v105, v87, v63 offset0:65 offset1:130
	ds_write_b32 v89, v64 offset:1820
	ds_write_b32 v89, v77 offset:3120
	;; [unrolled: 1-line block ×4, first 2 shown]
	v_pack_b32_f16 v63, v73, v128
	v_pack_b32_f16 v64, v74, v126
	;; [unrolled: 1-line block ×5, first 2 shown]
	ds_write_b32 v105, v63 offset:780
	ds_write_b32 v89, v64 offset:2080
	;; [unrolled: 1-line block ×5, first 2 shown]
	v_pack_b32_f16 v63, v72, v132
	v_pack_b32_f16 v64, v75, v130
	;; [unrolled: 1-line block ×5, first 2 shown]
	ds_write_b32 v105, v63 offset:1040
	ds_write_b32 v89, v64 offset:2340
	;; [unrolled: 1-line block ×5, first 2 shown]
	v_add_co_u32 v63, s0, 0x1800, v60
	v_add_co_ci_u32_e64 v64, s0, 0, v61, s0
	v_add_co_u32 v77, s0, 0x1964, v60
	v_add_co_ci_u32_e64 v78, s0, 0, v61, s0
	s_waitcnt lgkmcnt(0)
	s_barrier
	buffer_gl0_inv
	s_clause 0x4
	global_load_dword v88, v[63:64], off offset:356
	global_load_dword v120, v[77:78], off offset:500
	;; [unrolled: 1-line block ×5, first 2 shown]
	v_add_co_u32 v82, s0, 0x2000, v60
	v_add_co_ci_u32_e64 v83, s0, 0, v61, s0
	s_clause 0x2
	global_load_dword v138, v[82:83], off offset:808
	global_load_dword v139, v[82:83], off offset:1308
	;; [unrolled: 1-line block ×3, first 2 shown]
	v_add_co_u32 v82, s0, 0x2800, v60
	v_add_co_ci_u32_e64 v83, s0, 0, v61, s0
	s_clause 0x2
	global_load_dword v141, v[82:83], off offset:260
	global_load_dword v142, v[82:83], off offset:760
	;; [unrolled: 1-line block ×3, first 2 shown]
	v_add_co_u32 v84, s0, 0x3000, v60
	v_add_co_ci_u32_e64 v85, s0, 0, v61, s0
	s_clause 0x1
	global_load_dword v144, v[82:83], off offset:1760
	global_load_dword v145, v[84:85], off offset:212
	ds_read2_b32 v[84:85], v89 offset1:125
	v_add_nc_u32_e32 v82, 0x200, v89
	v_add_nc_u32_e32 v83, 0x600, v89
	ds_read2_b32 v[86:87], v82 offset0:122 offset1:247
	ds_read2_b32 v[118:119], v83 offset0:116 offset1:241
	s_waitcnt lgkmcnt(2)
	v_lshrrev_b32_e32 v133, 16, v84
	v_lshrrev_b32_e32 v134, 16, v85
	s_waitcnt vmcnt(12)
	v_mul_f16_sdwa v146, v133, v88 dst_sel:DWORD dst_unused:UNUSED_PAD src0_sel:DWORD src1_sel:WORD_1
	v_mul_f16_sdwa v147, v84, v88 dst_sel:DWORD dst_unused:UNUSED_PAD src0_sel:DWORD src1_sel:WORD_1
	s_waitcnt vmcnt(11)
	v_mul_f16_sdwa v148, v134, v120 dst_sel:DWORD dst_unused:UNUSED_PAD src0_sel:DWORD src1_sel:WORD_1
	v_mul_f16_sdwa v149, v85, v120 dst_sel:DWORD dst_unused:UNUSED_PAD src0_sel:DWORD src1_sel:WORD_1
	v_fma_f16 v84, v84, v88, -v146
	v_fmac_f16_e32 v147, v133, v88
	v_fma_f16 v85, v85, v120, -v148
	v_fmac_f16_e32 v149, v134, v120
	s_waitcnt lgkmcnt(1)
	v_lshrrev_b32_e32 v120, 16, v86
	v_lshrrev_b32_e32 v146, 16, v87
	v_pack_b32_f16 v88, v84, v147
	v_add_nc_u32_e32 v84, 0xa00, v89
	v_pack_b32_f16 v85, v85, v149
	s_waitcnt vmcnt(9)
	v_mul_f16_sdwa v148, v87, v136 dst_sel:DWORD dst_unused:UNUSED_PAD src0_sel:DWORD src1_sel:WORD_1
	v_mul_f16_sdwa v147, v146, v136 dst_sel:DWORD dst_unused:UNUSED_PAD src0_sel:DWORD src1_sel:WORD_1
	s_waitcnt lgkmcnt(0)
	v_lshrrev_b32_e32 v149, 16, v118
	ds_read2_b32 v[133:134], v84 offset0:110 offset1:235
	ds_write2_b32 v89, v88, v85 offset1:125
	v_mul_f16_sdwa v85, v120, v135 dst_sel:DWORD dst_unused:UNUSED_PAD src0_sel:DWORD src1_sel:WORD_1
	v_mul_f16_sdwa v88, v86, v135 dst_sel:DWORD dst_unused:UNUSED_PAD src0_sel:DWORD src1_sel:WORD_1
	v_fmac_f16_e32 v148, v146, v136
	v_fma_f16 v85, v86, v135, -v85
	v_fmac_f16_e32 v88, v120, v135
	v_fma_f16 v86, v87, v136, -v147
	v_add_nc_u32_e32 v87, 0xe00, v89
	s_waitcnt vmcnt(8)
	v_mul_f16_sdwa v120, v149, v137 dst_sel:DWORD dst_unused:UNUSED_PAD src0_sel:DWORD src1_sel:WORD_1
	v_mul_f16_sdwa v135, v118, v137 dst_sel:DWORD dst_unused:UNUSED_PAD src0_sel:DWORD src1_sel:WORD_1
	v_pack_b32_f16 v88, v85, v88
	v_pack_b32_f16 v136, v86, v148
	ds_read2_b32 v[85:86], v87 offset0:104 offset1:229
	v_fma_f16 v118, v118, v137, -v120
	v_fmac_f16_e32 v135, v149, v137
	v_lshrrev_b32_e32 v120, 16, v119
	ds_write2_b32 v82, v88, v136 offset0:122 offset1:247
	v_add_nc_u32_e32 v88, 0x1200, v89
	s_waitcnt lgkmcnt(3)
	v_lshrrev_b32_e32 v137, 16, v133
	v_pack_b32_f16 v118, v118, v135
	s_waitcnt vmcnt(7)
	v_mul_f16_sdwa v147, v119, v138 dst_sel:DWORD dst_unused:UNUSED_PAD src0_sel:DWORD src1_sel:WORD_1
	v_mul_f16_sdwa v146, v120, v138 dst_sel:DWORD dst_unused:UNUSED_PAD src0_sel:DWORD src1_sel:WORD_1
	ds_read2_b32 v[135:136], v88 offset0:98 offset1:223
	s_waitcnt vmcnt(6)
	v_mul_f16_sdwa v149, v137, v139 dst_sel:DWORD dst_unused:UNUSED_PAD src0_sel:DWORD src1_sel:WORD_1
	v_lshrrev_b32_e32 v148, 16, v134
	v_fmac_f16_e32 v147, v120, v138
	v_mul_f16_sdwa v120, v133, v139 dst_sel:DWORD dst_unused:UNUSED_PAD src0_sel:DWORD src1_sel:WORD_1
	v_fma_f16 v119, v119, v138, -v146
	v_fma_f16 v133, v133, v139, -v149
	ds_read_b32 v149, v89 offset:6000
	s_waitcnt vmcnt(5)
	v_mul_f16_sdwa v138, v148, v140 dst_sel:DWORD dst_unused:UNUSED_PAD src0_sel:DWORD src1_sel:WORD_1
	v_fmac_f16_e32 v120, v137, v139
	s_waitcnt lgkmcnt(3)
	v_lshrrev_b32_e32 v137, 16, v85
	v_mul_f16_sdwa v146, v134, v140 dst_sel:DWORD dst_unused:UNUSED_PAD src0_sel:DWORD src1_sel:WORD_1
	s_waitcnt vmcnt(4)
	v_mul_f16_sdwa v139, v85, v141 dst_sel:DWORD dst_unused:UNUSED_PAD src0_sel:DWORD src1_sel:WORD_1
	v_fma_f16 v134, v134, v140, -v138
	v_pack_b32_f16 v120, v133, v120
	v_mul_f16_sdwa v138, v137, v141 dst_sel:DWORD dst_unused:UNUSED_PAD src0_sel:DWORD src1_sel:WORD_1
	v_fmac_f16_e32 v146, v148, v140
	v_lshrrev_b32_e32 v133, 16, v86
	v_fmac_f16_e32 v139, v137, v141
	v_pack_b32_f16 v119, v119, v147
	s_waitcnt lgkmcnt(1)
	v_lshrrev_b32_e32 v140, 16, v135
	v_fma_f16 v85, v85, v141, -v138
	s_waitcnt vmcnt(3)
	v_mul_f16_sdwa v138, v86, v142 dst_sel:DWORD dst_unused:UNUSED_PAD src0_sel:DWORD src1_sel:WORD_1
	v_pack_b32_f16 v134, v134, v146
	v_mul_f16_sdwa v146, v133, v142 dst_sel:DWORD dst_unused:UNUSED_PAD src0_sel:DWORD src1_sel:WORD_1
	s_waitcnt vmcnt(2)
	v_mul_f16_sdwa v137, v140, v143 dst_sel:DWORD dst_unused:UNUSED_PAD src0_sel:DWORD src1_sel:WORD_1
	v_lshrrev_b32_e32 v141, 16, v136
	v_fmac_f16_e32 v138, v133, v142
	s_waitcnt lgkmcnt(0)
	v_lshrrev_b32_e32 v133, 16, v149
	v_fma_f16 v86, v86, v142, -v146
	v_fma_f16 v137, v135, v143, -v137
	v_mul_f16_sdwa v135, v135, v143 dst_sel:DWORD dst_unused:UNUSED_PAD src0_sel:DWORD src1_sel:WORD_1
	s_waitcnt vmcnt(1)
	v_mul_f16_sdwa v142, v141, v144 dst_sel:DWORD dst_unused:UNUSED_PAD src0_sel:DWORD src1_sel:WORD_1
	v_mul_f16_sdwa v146, v136, v144 dst_sel:DWORD dst_unused:UNUSED_PAD src0_sel:DWORD src1_sel:WORD_1
	s_waitcnt vmcnt(0)
	v_mul_f16_sdwa v147, v133, v145 dst_sel:DWORD dst_unused:UNUSED_PAD src0_sel:DWORD src1_sel:WORD_1
	v_mul_f16_sdwa v148, v149, v145 dst_sel:DWORD dst_unused:UNUSED_PAD src0_sel:DWORD src1_sel:WORD_1
	v_fmac_f16_e32 v135, v140, v143
	v_fma_f16 v136, v136, v144, -v142
	v_fmac_f16_e32 v146, v141, v144
	v_fma_f16 v140, v149, v145, -v147
	v_fmac_f16_e32 v148, v133, v145
	v_pack_b32_f16 v85, v85, v139
	v_pack_b32_f16 v86, v86, v138
	v_pack_b32_f16 v133, v137, v135
	v_pack_b32_f16 v135, v136, v146
	v_pack_b32_f16 v136, v140, v148
	ds_write2_b32 v83, v118, v119 offset0:116 offset1:241
	ds_write2_b32 v84, v120, v134 offset0:110 offset1:235
	;; [unrolled: 1-line block ×4, first 2 shown]
	ds_write_b32 v89, v136 offset:6000
	s_and_saveexec_b32 s1, vcc_lo
	s_cbranch_execz .LBB0_9
; %bb.8:
	v_add_co_u32 v85, s0, 0x800, v77
	s_clause 0x3
	global_load_dword v120, v[77:78], off offset:260
	global_load_dword v139, v[77:78], off offset:760
	global_load_dword v140, v[77:78], off offset:1260
	global_load_dword v141, v[77:78], off offset:1760
	v_add_co_ci_u32_e64 v86, s0, 0, v78, s0
	v_add_co_u32 v118, s0, 0x1000, v77
	v_add_co_ci_u32_e64 v119, s0, 0, v78, s0
	v_add_co_u32 v77, s0, 0x1800, v77
	global_load_dword v142, v[85:86], off offset:212
	v_add_co_ci_u32_e64 v78, s0, 0, v78, s0
	s_clause 0x7
	global_load_dword v143, v[85:86], off offset:712
	global_load_dword v144, v[85:86], off offset:1212
	global_load_dword v145, v[85:86], off offset:1712
	global_load_dword v146, v[118:119], off offset:164
	global_load_dword v147, v[118:119], off offset:664
	global_load_dword v148, v[118:119], off offset:1164
	global_load_dword v149, v[118:119], off offset:1664
	global_load_dword v150, v[77:78], off offset:116
	ds_read2_b32 v[77:78], v105 offset0:65 offset1:190
	ds_read2_b32 v[85:86], v81 offset0:59 offset1:184
	;; [unrolled: 1-line block ×3, first 2 shown]
	v_add_nc_u32_e32 v151, 0xc00, v105
	v_add_nc_u32_e32 v152, 0x1000, v105
	ds_read2_b32 v[133:134], v80 offset0:35 offset1:160
	ds_read_b32 v153, v105 offset:6260
	ds_read2_b32 v[135:136], v151 offset0:47 offset1:172
	ds_read2_b32 v[137:138], v152 offset0:41 offset1:166
	s_waitcnt lgkmcnt(6)
	v_lshrrev_b32_e32 v154, 16, v77
	v_lshrrev_b32_e32 v155, 16, v78
	s_waitcnt lgkmcnt(5)
	v_lshrrev_b32_e32 v156, 16, v85
	v_lshrrev_b32_e32 v157, 16, v86
	;; [unrolled: 3-line block ×5, first 2 shown]
	v_lshrrev_b32_e32 v160, 16, v133
	v_lshrrev_b32_e32 v161, 16, v134
	;; [unrolled: 1-line block ×3, first 2 shown]
	s_waitcnt vmcnt(12)
	v_mul_f16_sdwa v167, v154, v120 dst_sel:DWORD dst_unused:UNUSED_PAD src0_sel:DWORD src1_sel:WORD_1
	v_mul_f16_sdwa v168, v77, v120 dst_sel:DWORD dst_unused:UNUSED_PAD src0_sel:DWORD src1_sel:WORD_1
	s_waitcnt vmcnt(11)
	v_mul_f16_sdwa v169, v155, v139 dst_sel:DWORD dst_unused:UNUSED_PAD src0_sel:DWORD src1_sel:WORD_1
	v_mul_f16_sdwa v170, v78, v139 dst_sel:DWORD dst_unused:UNUSED_PAD src0_sel:DWORD src1_sel:WORD_1
	;; [unrolled: 3-line block ×4, first 2 shown]
	v_fma_f16 v77, v77, v120, -v167
	v_fmac_f16_e32 v168, v154, v120
	v_fma_f16 v78, v78, v139, -v169
	v_fmac_f16_e32 v170, v155, v139
	;; [unrolled: 2-line block ×4, first 2 shown]
	s_waitcnt vmcnt(8)
	v_mul_f16_sdwa v120, v158, v142 dst_sel:DWORD dst_unused:UNUSED_PAD src0_sel:DWORD src1_sel:WORD_1
	v_mul_f16_sdwa v139, v118, v142 dst_sel:DWORD dst_unused:UNUSED_PAD src0_sel:DWORD src1_sel:WORD_1
	s_waitcnt vmcnt(7)
	v_mul_f16_sdwa v140, v159, v143 dst_sel:DWORD dst_unused:UNUSED_PAD src0_sel:DWORD src1_sel:WORD_1
	v_mul_f16_sdwa v141, v119, v143 dst_sel:DWORD dst_unused:UNUSED_PAD src0_sel:DWORD src1_sel:WORD_1
	;; [unrolled: 3-line block ×9, first 2 shown]
	v_pack_b32_f16 v77, v77, v168
	v_pack_b32_f16 v78, v78, v170
	v_fma_f16 v118, v118, v142, -v120
	v_fmac_f16_e32 v139, v158, v142
	v_fma_f16 v119, v119, v143, -v140
	v_fmac_f16_e32 v141, v159, v143
	v_pack_b32_f16 v85, v85, v172
	v_pack_b32_f16 v86, v86, v174
	v_fma_f16 v120, v135, v144, -v154
	v_fmac_f16_e32 v155, v163, v144
	v_fma_f16 v135, v136, v145, -v156
	v_fmac_f16_e32 v157, v164, v145
	;; [unrolled: 2-line block ×7, first 2 shown]
	ds_write2_b32 v105, v77, v78 offset0:65 offset1:190
	ds_write2_b32 v81, v85, v86 offset0:59 offset1:184
	v_pack_b32_f16 v77, v118, v139
	v_pack_b32_f16 v78, v119, v141
	;; [unrolled: 1-line block ×9, first 2 shown]
	ds_write2_b32 v79, v77, v78 offset0:53 offset1:178
	ds_write2_b32 v151, v81, v85 offset0:47 offset1:172
	;; [unrolled: 1-line block ×4, first 2 shown]
	ds_write_b32 v105, v133 offset:6260
.LBB0_9:
	s_or_b32 exec_lo, exec_lo, s1
	s_waitcnt lgkmcnt(0)
	s_barrier
	buffer_gl0_inv
	ds_read2_b32 v[77:78], v89 offset1:125
	ds_read2_b32 v[85:86], v82 offset0:122 offset1:247
	ds_read2_b32 v[81:82], v83 offset0:116 offset1:241
	;; [unrolled: 1-line block ×5, first 2 shown]
	ds_read_b32 v136, v89 offset:6000
	s_and_saveexec_b32 s0, vcc_lo
	s_cbranch_execz .LBB0_11
; %bb.10:
	v_add_nc_u32_e32 v65, 0x400, v105
	v_add_nc_u32_e32 v66, 0x800, v105
	;; [unrolled: 1-line block ×3, first 2 shown]
	ds_read2_b32 v[69:70], v105 offset0:65 offset1:190
	ds_read2_b32 v[73:74], v65 offset0:59 offset1:184
	v_add_nc_u32_e32 v65, 0x1000, v105
	ds_read2_b32 v[67:68], v66 offset0:53 offset1:178
	v_add_nc_u32_e32 v66, 0x1400, v105
	ds_read2_b32 v[71:72], v71 offset0:47 offset1:172
	ds_read2_b32 v[75:76], v65 offset0:41 offset1:166
	;; [unrolled: 1-line block ×3, first 2 shown]
	ds_read_b32 v108, v105 offset:6260
	s_waitcnt lgkmcnt(6)
	v_lshrrev_b32_e32 v121, 16, v69
	v_lshrrev_b32_e32 v124, 16, v70
	s_waitcnt lgkmcnt(5)
	v_lshrrev_b32_e32 v128, 16, v73
	v_lshrrev_b32_e32 v126, 16, v74
	;; [unrolled: 3-line block ×6, first 2 shown]
	s_waitcnt lgkmcnt(0)
	v_lshrrev_b32_e32 v109, 16, v108
.LBB0_11:
	s_or_b32 exec_lo, exec_lo, s0
	s_waitcnt lgkmcnt(6)
	v_pk_add_f16 v133, v77, v78
	s_waitcnt lgkmcnt(0)
	v_pk_add_f16 v135, v136, v78
	v_pk_add_f16 v134, v78, v136 neg_lo:[0,1] neg_hi:[0,1]
	v_pk_add_f16 v160, v85, v88 neg_lo:[0,1] neg_hi:[0,1]
	v_mov_b32_e32 v138, 0x388b
	v_pk_add_f16 v133, v133, v85
	v_pk_add_f16 v163, v88, v85
	v_mov_b32_e32 v137, 0xba95
	v_mov_b32_e32 v142, 0xb5ac
	v_mul_f16_sdwa v145, v135, v138 dst_sel:DWORD dst_unused:UNUSED_PAD src0_sel:WORD_1 src1_sel:DWORD
	v_pk_add_f16 v78, v133, v86
	v_pk_mul_f16 v133, 0xb770, v134 op_sel_hi:[0,1]
	v_mov_b32_e32 v140, 0x2fb7
	v_mov_b32_e32 v141, 0xbb7b
	v_mul_f16_sdwa v144, v134, v137 dst_sel:DWORD dst_unused:UNUSED_PAD src0_sel:WORD_1 src1_sel:DWORD
	v_pk_add_f16 v78, v78, v81
	v_fmamk_f16 v152, v134, 0x3a95, v145
	v_mul_f16_sdwa v165, v163, v142 dst_sel:DWORD dst_unused:UNUSED_PAD src0_sel:WORD_1 src1_sel:DWORD
	v_mov_b32_e32 v139, 0xbbf1
	v_mul_f16_sdwa v147, v135, v140 dst_sel:DWORD dst_unused:UNUSED_PAD src0_sel:WORD_1 src1_sel:DWORD
	v_pk_add_f16 v78, v78, v82
	v_fmamk_f16 v151, v135, 0x388b, v144
	v_fma_f16 v144, v135, 0x388b, -v144
	v_fmac_f16_e32 v145, 0xba95, v134
	v_add_f16_sdwa v152, v77, v152 dst_sel:DWORD dst_unused:UNUSED_PAD src0_sel:WORD_1 src1_sel:DWORD
	v_pk_add_f16 v148, v78, v79
	v_pk_fma_f16 v78, 0x3b15, v135, v133 op_sel:[0,0,1] op_sel_hi:[0,1,0]
	v_pk_fma_f16 v133, 0x3b15, v135, v133 op_sel:[0,0,1] op_sel_hi:[0,1,0] neg_lo:[0,0,1] neg_hi:[0,0,1]
	v_mul_f16_sdwa v164, v160, v141 dst_sel:DWORD dst_unused:UNUSED_PAD src0_sel:WORD_1 src1_sel:DWORD
	v_fmamk_f16 v169, v160, 0x3b7b, v165
	v_pk_add_f16 v148, v148, v80
	v_mul_f16_sdwa v146, v134, v139 dst_sel:DWORD dst_unused:UNUSED_PAD src0_sel:WORD_1 src1_sel:DWORD
	v_bfi_b32 v157, 0xffff, v78, v133
	v_mul_f16_sdwa v149, v134, v141 dst_sel:DWORD dst_unused:UNUSED_PAD src0_sel:WORD_1 src1_sel:DWORD
	v_fmamk_f16 v154, v134, 0x3bf1, v147
	v_pk_add_f16 v148, v148, v83
	v_add_f16_e32 v151, v77, v151
	v_pk_add_f16 v157, v77, v157
	v_add_f16_e32 v144, v77, v144
	v_add_f16_sdwa v145, v77, v145 dst_sel:DWORD dst_unused:UNUSED_PAD src0_sel:WORD_1 src1_sel:DWORD
	v_pk_add_f16 v148, v148, v84
	v_fmamk_f16 v167, v163, 0xb5ac, v164
	v_mov_b32_e32 v168, 0xb3a8
	v_add_f16_e32 v152, v169, v152
	v_fma_f16 v164, v163, 0xb5ac, -v164
	v_pk_add_f16 v148, v148, v87
	v_fmac_f16_e32 v165, 0xbb7b, v160
	v_mov_b32_e32 v171, 0x394e
	v_fmamk_f16 v153, v135, 0x2fb7, v146
	v_fmamk_f16 v155, v135, 0xb5ac, v149
	v_pk_add_f16 v148, v148, v88
	v_pk_mul_f16 v88, 0xba95, v160 op_sel_hi:[0,1]
	v_add_f16_sdwa v154, v77, v154 dst_sel:DWORD dst_unused:UNUSED_PAD src0_sel:WORD_1 src1_sel:DWORD
	v_add_f16_e32 v151, v167, v151
	v_mul_f16_sdwa v167, v160, v168 dst_sel:DWORD dst_unused:UNUSED_PAD src0_sel:WORD_1 src1_sel:DWORD
	v_add_f16_e32 v144, v164, v144
	v_pk_fma_f16 v85, 0x388b, v163, v88 op_sel:[0,0,1] op_sel_hi:[0,1,0]
	v_pk_fma_f16 v88, 0x388b, v163, v88 op_sel:[0,0,1] op_sel_hi:[0,1,0] neg_lo:[0,0,1] neg_hi:[0,0,1]
	v_add_f16_e32 v145, v165, v145
	v_mul_f16_sdwa v165, v160, v171 dst_sel:DWORD dst_unused:UNUSED_PAD src0_sel:WORD_1 src1_sel:DWORD
	v_mov_b32_e32 v143, 0xb94e
	v_mul_f16_sdwa v150, v135, v142 dst_sel:DWORD dst_unused:UNUSED_PAD src0_sel:WORD_1 src1_sel:DWORD
	v_bfi_b32 v166, 0xffff, v85, v88
	v_fma_f16 v146, v135, 0x2fb7, -v146
	v_add_f16_e32 v153, v77, v153
	v_pk_add_f16 v136, v148, v136
	v_mov_b32_e32 v148, 0xb9fd
	v_pk_add_f16 v157, v166, v157
	v_mov_b32_e32 v166, 0xbbc4
	v_fma_f16 v149, v135, 0xb5ac, -v149
	v_add_f16_e32 v155, v77, v155
	v_fmamk_f16 v170, v163, 0xbbc4, v167
	v_fmac_f16_e32 v147, 0xbbf1, v134
	v_mul_f16_sdwa v169, v163, v166 dst_sel:DWORD dst_unused:UNUSED_PAD src0_sel:WORD_1 src1_sel:DWORD
	v_fmamk_f16 v156, v134, 0x3b7b, v150
	v_add_f16_e32 v146, v77, v146
	v_mul_f16_sdwa v158, v134, v143 dst_sel:DWORD dst_unused:UNUSED_PAD src0_sel:WORD_1 src1_sel:DWORD
	v_add_f16_e32 v149, v77, v149
	v_fmamk_f16 v164, v160, 0x33a8, v169
	v_add_f16_e32 v153, v170, v153
	v_fma_f16 v167, v163, 0xbbc4, -v167
	v_mul_f16_sdwa v170, v163, v148 dst_sel:DWORD dst_unused:UNUSED_PAD src0_sel:WORD_1 src1_sel:DWORD
	v_mov_b32_e32 v172, 0x3bf1
	v_add_f16_e32 v154, v164, v154
	v_fmamk_f16 v164, v163, 0xb9fd, v165
	v_add_f16_sdwa v147, v77, v147 dst_sel:DWORD dst_unused:UNUSED_PAD src0_sel:WORD_1 src1_sel:DWORD
	v_add_f16_sdwa v156, v77, v156 dst_sel:DWORD dst_unused:UNUSED_PAD src0_sel:WORD_1 src1_sel:DWORD
	v_mul_f16_sdwa v159, v135, v148 dst_sel:DWORD dst_unused:UNUSED_PAD src0_sel:WORD_1 src1_sel:DWORD
	v_fmac_f16_e32 v150, 0xbb7b, v134
	v_add_f16_e32 v155, v164, v155
	v_fma_f16 v164, v163, 0xb9fd, -v165
	v_fmamk_f16 v161, v135, 0xb9fd, v158
	v_fma_f16 v158, v135, 0xb9fd, -v158
	v_fmac_f16_e32 v169, 0xb3a8, v160
	v_add_f16_e32 v146, v167, v146
	v_fmamk_f16 v167, v160, 0xb94e, v170
	v_mul_f16_sdwa v165, v160, v172 dst_sel:DWORD dst_unused:UNUSED_PAD src0_sel:WORD_1 src1_sel:DWORD
	v_add_f16_e32 v149, v164, v149
	v_pk_add_f16 v164, v86, v87 neg_lo:[0,1] neg_hi:[0,1]
	v_fmamk_f16 v162, v134, 0x394e, v159
	v_add_f16_sdwa v150, v77, v150 dst_sel:DWORD dst_unused:UNUSED_PAD src0_sel:WORD_1 src1_sel:DWORD
	v_add_f16_e32 v161, v77, v161
	v_fmac_f16_e32 v159, 0xb94e, v134
	v_add_f16_e32 v158, v77, v158
	v_add_f16_e32 v147, v169, v147
	;; [unrolled: 1-line block ×3, first 2 shown]
	v_fmac_f16_e32 v170, 0x394e, v160
	v_mul_f16_sdwa v167, v163, v140 dst_sel:DWORD dst_unused:UNUSED_PAD src0_sel:WORD_1 src1_sel:DWORD
	v_fmamk_f16 v169, v163, 0x2fb7, v165
	v_pk_add_f16 v86, v87, v86
	v_pk_mul_f16 v87, 0xbbf1, v164 op_sel_hi:[0,1]
	v_fma_f16 v165, v163, 0x2fb7, -v165
	v_add_f16_sdwa v162, v77, v162 dst_sel:DWORD dst_unused:UNUSED_PAD src0_sel:WORD_1 src1_sel:DWORD
	v_add_f16_sdwa v159, v77, v159 dst_sel:DWORD dst_unused:UNUSED_PAD src0_sel:WORD_1 src1_sel:DWORD
	v_add_f16_e32 v150, v170, v150
	v_fmamk_f16 v170, v160, 0xbbf1, v167
	v_add_f16_e32 v161, v169, v161
	v_fmac_f16_e32 v167, 0x3bf1, v160
	v_pk_fma_f16 v169, 0x2fb7, v86, v87 op_sel:[0,0,1] op_sel_hi:[0,1,0]
	v_pk_fma_f16 v87, 0x2fb7, v86, v87 op_sel:[0,0,1] op_sel_hi:[0,1,0] neg_lo:[0,0,1] neg_hi:[0,0,1]
	v_add_f16_e32 v158, v165, v158
	v_mul_f16_sdwa v165, v164, v168 dst_sel:DWORD dst_unused:UNUSED_PAD src0_sel:WORD_1 src1_sel:DWORD
	v_mul_f16_sdwa v168, v86, v166 dst_sel:DWORD dst_unused:UNUSED_PAD src0_sel:WORD_1 src1_sel:DWORD
	v_add_f16_e32 v162, v170, v162
	v_add_f16_e32 v159, v167, v159
	v_bfi_b32 v167, 0xffff, v169, v87
	v_mov_b32_e32 v170, 0x3b7b
	v_fmamk_f16 v173, v86, 0xbbc4, v165
	v_fmamk_f16 v174, v164, 0x33a8, v168
	v_fma_f16 v165, v86, 0xbbc4, -v165
	v_pk_add_f16 v157, v167, v157
	v_mul_f16_sdwa v167, v164, v170 dst_sel:DWORD dst_unused:UNUSED_PAD src0_sel:WORD_1 src1_sel:DWORD
	v_add_f16_e32 v151, v173, v151
	v_add_f16_e32 v152, v174, v152
	v_fmac_f16_e32 v168, 0xb3a8, v164
	v_mul_f16_sdwa v173, v86, v142 dst_sel:DWORD dst_unused:UNUSED_PAD src0_sel:WORD_1 src1_sel:DWORD
	v_mov_b32_e32 v174, 0x3b15
	v_add_f16_e32 v144, v165, v144
	v_fmamk_f16 v165, v86, 0xb5ac, v167
	v_mov_b32_e32 v170, 0x3770
	v_add_f16_e32 v145, v168, v145
	v_fmamk_f16 v168, v164, 0xbb7b, v173
	v_mul_f16_sdwa v175, v86, v174 dst_sel:DWORD dst_unused:UNUSED_PAD src0_sel:WORD_1 src1_sel:DWORD
	v_add_f16_e32 v153, v165, v153
	v_mul_f16_sdwa v165, v164, v170 dst_sel:DWORD dst_unused:UNUSED_PAD src0_sel:WORD_1 src1_sel:DWORD
	v_fma_f16 v167, v86, 0xb5ac, -v167
	v_add_f16_e32 v154, v168, v154
	v_fmamk_f16 v168, v164, 0xb770, v175
	v_fmac_f16_e32 v173, 0x3b7b, v164
	v_fmamk_f16 v176, v86, 0x3b15, v165
	v_add_f16_e32 v146, v167, v146
	v_mul_f16_sdwa v167, v164, v137 dst_sel:DWORD dst_unused:UNUSED_PAD src0_sel:WORD_1 src1_sel:DWORD
	v_add_f16_e32 v156, v168, v156
	v_pk_add_f16 v168, v81, v84 neg_lo:[0,1] neg_hi:[0,1]
	v_add_f16_e32 v147, v173, v147
	v_add_f16_e32 v155, v176, v155
	v_fma_f16 v165, v86, 0x3b15, -v165
	v_fmamk_f16 v173, v86, 0x388b, v167
	v_mul_f16_sdwa v176, v86, v138 dst_sel:DWORD dst_unused:UNUSED_PAD src0_sel:WORD_1 src1_sel:DWORD
	v_pk_add_f16 v81, v84, v81
	v_pk_mul_f16 v84, 0xbb7b, v168 op_sel_hi:[0,1]
	v_fmac_f16_e32 v175, 0x3770, v164
	v_add_f16_e32 v149, v165, v149
	v_add_f16_e32 v161, v173, v161
	v_fmamk_f16 v165, v164, 0x3a95, v176
	v_pk_fma_f16 v173, 0xb5ac, v81, v84 op_sel:[0,0,1] op_sel_hi:[0,1,0]
	v_pk_fma_f16 v84, 0xb5ac, v81, v84 op_sel:[0,0,1] op_sel_hi:[0,1,0] neg_lo:[0,0,1] neg_hi:[0,0,1]
	v_mul_f16_sdwa v171, v168, v171 dst_sel:DWORD dst_unused:UNUSED_PAD src0_sel:WORD_1 src1_sel:DWORD
	v_fma_f16 v167, v86, 0x388b, -v167
	v_add_f16_e32 v150, v175, v150
	v_add_f16_e32 v162, v165, v162
	v_bfi_b32 v165, 0xffff, v173, v84
	v_fmamk_f16 v175, v81, 0xb9fd, v171
	v_add_f16_e32 v158, v167, v158
	v_mul_f16_sdwa v167, v81, v148 dst_sel:DWORD dst_unused:UNUSED_PAD src0_sel:WORD_1 src1_sel:DWORD
	v_fmac_f16_e32 v176, 0xba95, v164
	v_pk_add_f16 v157, v165, v157
	v_add_f16_e32 v151, v175, v151
	v_mul_f16_sdwa v165, v168, v170 dst_sel:DWORD dst_unused:UNUSED_PAD src0_sel:WORD_1 src1_sel:DWORD
	v_fmamk_f16 v175, v168, 0xb94e, v167
	v_fmac_f16_e32 v167, 0x394e, v168
	v_add_f16_e32 v159, v176, v159
	v_mul_f16_sdwa v176, v81, v174 dst_sel:DWORD dst_unused:UNUSED_PAD src0_sel:WORD_1 src1_sel:DWORD
	v_fma_f16 v171, v81, 0xb9fd, -v171
	v_fmamk_f16 v177, v81, 0x3b15, v165
	v_add_f16_e32 v145, v167, v145
	v_mul_f16_sdwa v139, v168, v139 dst_sel:DWORD dst_unused:UNUSED_PAD src0_sel:WORD_1 src1_sel:DWORD
	v_mul_f16_sdwa v167, v81, v140 dst_sel:DWORD dst_unused:UNUSED_PAD src0_sel:WORD_1 src1_sel:DWORD
	v_add_f16_e32 v152, v175, v152
	v_fmamk_f16 v175, v168, 0xb770, v176
	v_add_f16_e32 v144, v171, v144
	v_add_f16_e32 v153, v177, v153
	v_fmamk_f16 v171, v81, 0x2fb7, v139
	v_fmamk_f16 v177, v168, 0x3bf1, v167
	v_add_f16_e32 v154, v175, v154
	v_fma_f16 v165, v81, 0x3b15, -v165
	v_mov_b32_e32 v175, 0x33a8
	v_add_f16_e32 v155, v171, v155
	v_add_f16_e32 v156, v177, v156
	v_fma_f16 v139, v81, 0x2fb7, -v139
	v_pk_add_f16 v171, v82, v83 neg_lo:[0,1] neg_hi:[0,1]
	v_fmac_f16_e32 v167, 0xbbf1, v168
	v_mul_f16_sdwa v177, v81, v166 dst_sel:DWORD dst_unused:UNUSED_PAD src0_sel:WORD_1 src1_sel:DWORD
	v_fmac_f16_e32 v176, 0x3770, v168
	v_add_f16_e32 v146, v165, v146
	v_mul_f16_sdwa v165, v168, v175 dst_sel:DWORD dst_unused:UNUSED_PAD src0_sel:WORD_1 src1_sel:DWORD
	v_pk_add_f16 v82, v83, v82
	v_pk_mul_f16 v83, 0xb94e, v171 op_sel_hi:[0,1]
	v_add_f16_e32 v139, v139, v149
	v_add_f16_e32 v149, v167, v150
	v_fmamk_f16 v150, v168, 0xb3a8, v177
	v_add_f16_e32 v147, v176, v147
	v_fmamk_f16 v176, v81, 0xbbc4, v165
	v_pk_fma_f16 v167, 0xb9fd, v82, v83 op_sel:[0,0,1] op_sel_hi:[0,1,0]
	v_pk_fma_f16 v83, 0xb9fd, v82, v83 op_sel:[0,0,1] op_sel_hi:[0,1,0] neg_lo:[0,0,1] neg_hi:[0,0,1]
	v_fma_f16 v165, v81, 0xbbc4, -v165
	v_add_f16_e32 v150, v150, v162
	v_mul_f16_sdwa v162, v171, v172 dst_sel:DWORD dst_unused:UNUSED_PAD src0_sel:WORD_1 src1_sel:DWORD
	v_mul_f16_sdwa v140, v82, v140 dst_sel:DWORD dst_unused:UNUSED_PAD src0_sel:WORD_1 src1_sel:DWORD
	v_bfi_b32 v172, 0xffff, v167, v83
	v_add_f16_e32 v158, v165, v158
	v_mul_f16_sdwa v137, v171, v137 dst_sel:DWORD dst_unused:UNUSED_PAD src0_sel:WORD_1 src1_sel:DWORD
	v_fmamk_f16 v165, v82, 0x2fb7, v162
	v_fma_f16 v162, v82, 0x2fb7, -v162
	v_pk_add_f16 v157, v172, v157
	v_fmamk_f16 v172, v171, 0xbbf1, v140
	v_fmac_f16_e32 v140, 0x3bf1, v171
	v_add_f16_e32 v151, v165, v151
	v_fmamk_f16 v165, v82, 0x388b, v137
	v_add_f16_e32 v144, v162, v144
	v_mul_f16_sdwa v162, v82, v138 dst_sel:DWORD dst_unused:UNUSED_PAD src0_sel:WORD_1 src1_sel:DWORD
	v_add_f16_e32 v140, v140, v145
	v_add_f16_e32 v152, v172, v152
	;; [unrolled: 1-line block ×3, first 2 shown]
	v_mul_f16_sdwa v153, v171, v175 dst_sel:DWORD dst_unused:UNUSED_PAD src0_sel:WORD_1 src1_sel:DWORD
	v_mul_f16_sdwa v165, v82, v166 dst_sel:DWORD dst_unused:UNUSED_PAD src0_sel:WORD_1 src1_sel:DWORD
	v_fmamk_f16 v166, v171, 0x3a95, v162
	v_fma_f16 v137, v82, 0x388b, -v137
	v_fmac_f16_e32 v162, 0xba95, v171
	v_fmamk_f16 v172, v82, 0xbbc4, v153
	v_fmamk_f16 v175, v171, 0xb3a8, v165
	v_add_f16_e32 v154, v166, v154
	v_add_f16_e32 v137, v137, v146
	;; [unrolled: 1-line block ×5, first 2 shown]
	v_mul_f16_sdwa v156, v171, v170 dst_sel:DWORD dst_unused:UNUSED_PAD src0_sel:WORD_1 src1_sel:DWORD
	v_pk_add_f16 v166, v79, v80 neg_lo:[0,1] neg_hi:[0,1]
	v_fmac_f16_e32 v165, 0x33a8, v171
	v_pk_add_f16 v79, v80, v79
	v_fmac_f16_e32 v177, 0x33a8, v168
	v_mul_f16_sdwa v162, v82, v174 dst_sel:DWORD dst_unused:UNUSED_PAD src0_sel:WORD_1 src1_sel:DWORD
	v_fmamk_f16 v172, v82, 0x3b15, v156
	v_add_f16_e32 v149, v165, v149
	v_mul_f16_sdwa v165, v166, v170 dst_sel:DWORD dst_unused:UNUSED_PAD src0_sel:WORD_1 src1_sel:DWORD
	v_fma_f16 v156, v82, 0x3b15, -v156
	v_mul_f16_sdwa v170, v79, v174 dst_sel:DWORD dst_unused:UNUSED_PAD src0_sel:WORD_1 src1_sel:DWORD
	v_add_f16_e32 v159, v177, v159
	v_fmamk_f16 v175, v171, 0xb770, v162
	v_fmac_f16_e32 v162, 0x3770, v171
	v_add_f16_e32 v156, v156, v158
	v_fmamk_f16 v158, v166, 0xb770, v170
	v_mul_f16_sdwa v143, v166, v143 dst_sel:DWORD dst_unused:UNUSED_PAD src0_sel:WORD_1 src1_sel:DWORD
	v_fmamk_f16 v174, v79, 0x3b15, v165
	v_add_f16_e32 v159, v162, v159
	v_mov_b32_e32 v162, 0x3a95
	v_add_f16_e32 v152, v158, v152
	v_fma_f16 v158, v79, 0x3b15, -v165
	v_fmamk_f16 v165, v79, 0xb9fd, v143
	v_mul_f16_sdwa v148, v79, v148 dst_sel:DWORD dst_unused:UNUSED_PAD src0_sel:WORD_1 src1_sel:DWORD
	v_add_f16_e32 v161, v176, v161
	v_fma_f16 v153, v82, 0xbbc4, -v153
	v_add_f16_e32 v144, v158, v144
	v_mul_f16_sdwa v158, v166, v162 dst_sel:DWORD dst_unused:UNUSED_PAD src0_sel:WORD_1 src1_sel:DWORD
	v_pk_mul_f16 v80, 0xb3a8, v166 op_sel_hi:[0,1]
	v_add_f16_e32 v145, v165, v145
	v_fmamk_f16 v162, v166, 0x394e, v148
	v_fma_f16 v143, v79, 0xb9fd, -v143
	v_fmac_f16_e32 v148, 0xb94e, v166
	v_fmamk_f16 v165, v79, 0x388b, v158
	v_mul_f16_sdwa v138, v79, v138 dst_sel:DWORD dst_unused:UNUSED_PAD src0_sel:WORD_1 src1_sel:DWORD
	v_add_f16_e32 v139, v153, v139
	v_add_f16_e32 v153, v172, v161
	v_pk_fma_f16 v161, 0xbbc4, v79, v80 op_sel:[0,0,1] op_sel_hi:[0,1,0]
	v_pk_fma_f16 v80, 0xbbc4, v79, v80 op_sel:[0,0,1] op_sel_hi:[0,1,0] neg_lo:[0,0,1] neg_hi:[0,0,1]
	v_add_f16_e32 v137, v143, v137
	v_add_f16_e32 v143, v148, v146
	;; [unrolled: 1-line block ×3, first 2 shown]
	v_fmamk_f16 v147, v166, 0xba95, v138
	v_fmac_f16_e32 v138, 0x3a95, v166
	v_mul_f16_sdwa v142, v79, v142 dst_sel:DWORD dst_unused:UNUSED_PAD src0_sel:WORD_1 src1_sel:DWORD
	v_add_f16_e32 v150, v175, v150
	v_bfi_b32 v172, 0xffff, v161, v80
	v_fma_f16 v148, v79, 0x388b, -v158
	v_mul_f16_sdwa v141, v166, v141 dst_sel:DWORD dst_unused:UNUSED_PAD src0_sel:WORD_1 src1_sel:DWORD
	v_add_f16_e32 v138, v138, v149
	v_fmamk_f16 v149, v166, 0x3b7b, v142
	v_pk_mul_f16 v135, 0xbbc4, v135 op_sel_hi:[0,1]
	v_pk_add_f16 v157, v172, v157
	v_add_f16_e32 v139, v148, v139
	v_fmamk_f16 v148, v79, 0xb5ac, v141
	v_add_f16_e32 v149, v149, v150
	v_pk_fma_f16 v150, 0xb3a8, v134, v135 op_sel:[0,0,1] op_sel_hi:[0,1,0]
	s_barrier
	buffer_gl0_inv
	v_add_f16_e32 v151, v174, v151
	v_add_f16_e32 v148, v148, v153
	ds_write2_b32 v107, v136, v157 offset1:1
	v_pk_mul_f16 v136, 0x3b15, v163 op_sel_hi:[0,1]
	v_alignbit_b32 v153, s0, v150, 16
	v_add_f16_e32 v154, v162, v154
	v_pack_b32_f16 v151, v151, v152
	v_pk_fma_f16 v134, 0xb3a8, v134, v135 op_sel:[0,0,1] op_sel_hi:[0,1,0] neg_lo:[0,1,0] neg_hi:[0,1,0]
	v_pk_fma_f16 v135, 0x3770, v160, v136 op_sel:[0,0,1] op_sel_hi:[0,1,0]
	v_pk_add_f16 v152, v77, v153
	v_pk_mul_f16 v86, 0xb9fd, v86 op_sel_hi:[0,1]
	v_alignbit_b32 v153, s0, v77, 16
	v_add_f16_e32 v147, v147, v155
	v_pack_b32_f16 v145, v145, v154
	v_pk_add_f16 v134, v77, v134 op_sel:[1,0] op_sel_hi:[0,1]
	v_alignbit_b32 v154, s0, v135, 16
	v_pk_fma_f16 v136, 0x3770, v160, v136 op_sel:[0,0,1] op_sel_hi:[0,1,0] neg_lo:[0,1,0] neg_hi:[0,1,0]
	v_pk_fma_f16 v155, 0xb94e, v164, v86 op_sel:[0,0,1] op_sel_hi:[0,1,0]
	v_pk_add_f16 v150, v153, v150
	v_pk_mul_f16 v81, 0x388b, v81 op_sel_hi:[0,1]
	v_bfi_b32 v78, 0xffff, v133, v78
	v_pk_add_f16 v152, v154, v152
	v_pk_add_f16 v134, v136, v134
	v_alignbit_b32 v136, s0, v155, 16
	v_pk_fma_f16 v86, 0xb94e, v164, v86 op_sel:[0,0,1] op_sel_hi:[0,1,0] neg_lo:[0,1,0] neg_hi:[0,1,0]
	v_pk_fma_f16 v153, 0x3a95, v168, v81 op_sel:[0,0,1] op_sel_hi:[0,1,0]
	v_pk_add_f16 v135, v135, v150
	v_pk_mul_f16 v82, 0xb5ac, v82 op_sel_hi:[0,1]
	v_pk_add_f16 v77, v77, v78
	v_bfi_b32 v78, 0xffff, v88, v85
	v_fma_f16 v141, v79, 0xb5ac, -v141
	v_pk_add_f16 v136, v136, v152
	v_pk_add_f16 v86, v86, v134
	v_alignbit_b32 v134, s0, v153, 16
	v_pk_fma_f16 v81, 0x3a95, v168, v81 op_sel:[0,0,1] op_sel_hi:[0,1,0] neg_lo:[0,1,0] neg_hi:[0,1,0]
	v_pk_fma_f16 v150, 0xbb7b, v171, v82 op_sel:[0,0,1] op_sel_hi:[0,1,0]
	v_pk_add_f16 v135, v155, v135
	v_pk_mul_f16 v79, 0x2fb7, v79 op_sel_hi:[0,1]
	v_pk_add_f16 v77, v78, v77
	v_bfi_b32 v78, 0xffff, v87, v169
	v_pk_add_f16 v133, v134, v136
	v_pk_add_f16 v81, v81, v86
	v_alignbit_b32 v86, s0, v150, 16
	v_pk_add_f16 v85, v153, v135
	v_pk_fma_f16 v82, 0xbb7b, v171, v82 op_sel:[0,0,1] op_sel_hi:[0,1,0] neg_lo:[0,1,0] neg_hi:[0,1,0]
	v_pk_fma_f16 v88, 0x3bf1, v166, v79 op_sel:[0,0,1] op_sel_hi:[0,1,0]
	v_pk_add_f16 v77, v78, v77
	v_bfi_b32 v78, 0xffff, v84, v173
	v_pk_add_f16 v86, v86, v133
	v_pk_add_f16 v81, v82, v81
	;; [unrolled: 1-line block ×3, first 2 shown]
	v_alignbit_b32 v85, s0, v88, 16
	v_pk_fma_f16 v79, 0x3bf1, v166, v79 op_sel:[0,0,1] op_sel_hi:[0,1,0] neg_lo:[0,1,0] neg_hi:[0,1,0]
	v_fmac_f16_e32 v142, 0xbb7b, v166
	v_fmac_f16_e32 v170, 0x3770, v166
	v_pk_add_f16 v77, v78, v77
	v_bfi_b32 v78, 0xffff, v83, v167
	v_pk_add_f16 v84, v85, v86
	v_pk_add_f16 v79, v79, v81
	;; [unrolled: 1-line block ×3, first 2 shown]
	v_add_f16_e32 v141, v141, v156
	v_add_f16_e32 v142, v142, v159
	;; [unrolled: 1-line block ×3, first 2 shown]
	v_pk_add_f16 v77, v78, v77
	v_bfi_b32 v78, 0xffff, v80, v161
	v_add_nc_u32_e32 v120, 0x208, v89
	v_add_nc_u32_e32 v119, 0x30c, v89
	;; [unrolled: 1-line block ×3, first 2 shown]
	v_pack_b32_f16 v82, v148, v149
	v_pack_b32_f16 v83, v146, v147
	v_alignbit_b32 v81, v81, v79, 16
	v_pack_b32_f16 v79, v84, v79
	v_pack_b32_f16 v80, v139, v138
	;; [unrolled: 1-line block ×5, first 2 shown]
	v_pk_add_f16 v77, v78, v77
	ds_write2_b32 v107, v151, v145 offset0:2 offset1:3
	ds_write2_b32 v107, v83, v82 offset0:4 offset1:5
	;; [unrolled: 1-line block ×5, first 2 shown]
	ds_write_b32 v107, v77 offset:48
	s_and_saveexec_b32 s0, vcc_lo
	s_cbranch_execz .LBB0_13
; %bb.12:
	v_add_f16_e32 v136, v109, v124
	v_sub_f16_e32 v81, v70, v108
	v_add_f16_e32 v137, v129, v128
	v_sub_f16_e32 v78, v73, v66
	v_add_f16_e32 v138, v122, v126
	v_mul_f16_e32 v139, 0xbbc4, v136
	v_sub_f16_e32 v79, v74, v65
	v_mul_f16_e32 v141, 0x3b15, v137
	v_add_f16_e32 v140, v131, v127
	v_mul_f16_e32 v143, 0xb9fd, v138
	v_fmamk_f16 v82, v81, 0x33a8, v139
	v_sub_f16_e32 v144, v124, v109
	v_fmamk_f16 v83, v78, 0xb770, v141
	v_sub_f16_e32 v77, v67, v76
	v_mul_f16_e32 v145, 0x388b, v140
	v_add_f16_e32 v84, v121, v82
	v_add_f16_e32 v82, v108, v70
	v_fmamk_f16 v85, v79, 0x394e, v143
	v_mul_f16_e32 v146, 0xb3a8, v144
	v_sub_f16_e32 v147, v128, v129
	v_add_f16_e32 v84, v83, v84
	v_add_f16_e32 v83, v66, v73
	v_fmamk_f16 v86, v77, 0xba95, v145
	v_sub_f16_e32 v149, v126, v122
	v_mul_f16_e32 v148, 0x3770, v147
	v_add_f16_e32 v84, v85, v84
	v_fmamk_f16 v85, v82, 0xbbc4, v146
	v_sub_f16_e32 v152, v127, v131
	v_mul_f16_e32 v151, 0xb94e, v149
	v_fmamk_f16 v87, v83, 0x3b15, v148
	v_add_f16_e32 v86, v86, v84
	v_add_f16_e32 v85, v69, v85
	;; [unrolled: 1-line block ×4, first 2 shown]
	v_mul_f16_e32 v154, 0x3a95, v152
	v_sub_f16_e32 v156, v123, v130
	v_add_f16_e32 v88, v87, v85
	v_fmamk_f16 v133, v84, 0xb9fd, v151
	v_add_f16_e32 v87, v76, v67
	v_sub_f16_e32 v80, v68, v75
	v_mul_f16_e32 v150, 0xb5ac, v142
	v_add_f16_e32 v153, v132, v125
	v_add_f16_e32 v133, v133, v88
	v_fmamk_f16 v134, v87, 0x388b, v154
	v_add_f16_e32 v88, v75, v68
	v_mul_f16_e32 v157, 0xbb7b, v156
	v_mul_f16_e32 v158, 0xb9fd, v136
	v_fmamk_f16 v107, v80, 0x3b7b, v150
	v_mul_f16_e32 v155, 0x2fb7, v153
	v_sub_f16_e32 v85, v71, v72
	v_add_f16_e32 v133, v134, v133
	v_fmamk_f16 v134, v88, 0xb5ac, v157
	v_fmamk_f16 v135, v81, 0x394e, v158
	v_mul_f16_e32 v159, 0x2fb7, v137
	v_add_f16_e32 v86, v107, v86
	v_fmamk_f16 v107, v85, 0xbbf1, v155
	v_add_f16_e32 v133, v134, v133
	v_sub_f16_e32 v160, v125, v132
	v_add_f16_e32 v134, v121, v135
	v_fmamk_f16 v135, v78, 0xbbf1, v159
	v_mul_f16_e32 v161, 0x388b, v138
	v_mul_f16_e32 v163, 0xb94e, v144
	v_add_f16_e32 v86, v107, v86
	v_add_f16_e32 v107, v72, v71
	v_mul_f16_e32 v162, 0x3bf1, v160
	v_add_f16_e32 v134, v135, v134
	v_fmamk_f16 v135, v79, 0x3a95, v161
	v_mul_f16_e32 v164, 0xbbc4, v140
	v_fmamk_f16 v166, v82, 0xb9fd, v163
	v_mul_f16_e32 v167, 0x3bf1, v147
	v_fmamk_f16 v165, v107, 0x2fb7, v162
	v_add_f16_e32 v134, v135, v134
	v_fmamk_f16 v135, v77, 0xb3a8, v164
	v_mul_f16_e32 v168, 0x3b15, v142
	v_add_f16_e32 v166, v69, v166
	v_fmamk_f16 v169, v83, 0x2fb7, v167
	v_mul_f16_e32 v170, 0xba95, v149
	v_add_f16_e32 v134, v135, v134
	v_fmamk_f16 v135, v80, 0xb770, v168
	v_add_f16_e32 v133, v165, v133
	v_add_f16_e32 v165, v169, v166
	v_fmamk_f16 v166, v84, 0x388b, v170
	v_mul_f16_e32 v169, 0x33a8, v152
	v_add_f16_e32 v134, v135, v134
	v_mul_f16_e32 v177, 0xbb7b, v144
	v_mul_f16_e32 v181, 0x394e, v147
	v_add_f16_e32 v135, v166, v165
	v_fmamk_f16 v165, v87, 0xbbc4, v169
	v_mul_f16_e32 v166, 0x3770, v156
	v_fmamk_f16 v180, v82, 0xb5ac, v177
	v_mul_f16_e32 v171, 0xb5ac, v153
	v_mul_f16_e32 v172, 0xb5ac, v136
	v_add_f16_e32 v135, v165, v135
	v_fmamk_f16 v165, v88, 0x3b15, v166
	v_add_f16_e32 v180, v69, v180
	v_fmamk_f16 v183, v83, 0xb9fd, v181
	v_mul_f16_e32 v184, 0x3770, v149
	v_fmamk_f16 v173, v85, 0x3b7b, v171
	v_add_f16_e32 v135, v165, v135
	v_mul_f16_e32 v165, 0xbb7b, v160
	v_fmamk_f16 v174, v81, 0x3b7b, v172
	v_mul_f16_e32 v175, 0xb9fd, v137
	v_add_f16_e32 v134, v173, v134
	v_mul_f16_e32 v176, 0x3b15, v138
	v_fmamk_f16 v179, v107, 0xb5ac, v165
	v_add_f16_e32 v173, v121, v174
	v_fmamk_f16 v174, v78, 0xb94e, v175
	v_mul_f16_e32 v186, 0x33a8, v156
	v_mul_f16_e32 v178, 0x2fb7, v140
	v_add_f16_e32 v135, v179, v135
	v_add_f16_e32 v179, v183, v180
	v_fmamk_f16 v180, v84, 0x3b15, v184
	v_mul_f16_e32 v183, 0xbbf1, v152
	v_add_f16_e32 v173, v174, v173
	v_fmamk_f16 v174, v79, 0xb770, v176
	v_mul_f16_e32 v191, 0xbbf1, v144
	;; [unrolled: 3-line block ×3, first 2 shown]
	v_add_f16_e32 v173, v174, v173
	v_fmamk_f16 v174, v77, 0x3bf1, v178
	v_fmamk_f16 v194, v82, 0x2fb7, v191
	v_add_f16_e32 v179, v180, v179
	v_fmamk_f16 v180, v88, 0xbbc4, v186
	v_mul_f16_e32 v195, 0xb3a8, v147
	v_add_f16_e32 v173, v174, v173
	v_fmamk_f16 v174, v80, 0xb3a8, v182
	v_add_f16_e32 v194, v69, v194
	v_add_f16_e32 v179, v180, v179
	v_mul_f16_e32 v180, 0x3a95, v160
	v_fmamk_f16 v197, v83, 0xbbc4, v195
	v_mul_f16_e32 v198, 0x3b7b, v149
	v_add_f16_e32 v173, v174, v173
	v_mul_f16_e32 v174, 0x388b, v153
	v_fmamk_f16 v193, v107, 0x388b, v180
	v_mul_f16_e32 v185, 0x2fb7, v136
	v_mul_f16_e32 v189, 0xbbc4, v137
	;; [unrolled: 1-line block ×3, first 2 shown]
	v_fmamk_f16 v187, v85, 0xba95, v174
	v_add_f16_e32 v179, v193, v179
	v_add_f16_e32 v193, v197, v194
	v_fmamk_f16 v194, v84, 0xb5ac, v198
	v_mul_f16_e32 v197, 0x3770, v152
	v_fmamk_f16 v188, v81, 0x3bf1, v185
	v_add_f16_e32 v173, v187, v173
	v_mul_f16_e32 v190, 0xb5ac, v138
	v_add_f16_e32 v193, v194, v193
	v_fmamk_f16 v194, v87, 0x3b15, v197
	v_add_f16_e32 v187, v121, v188
	v_fmamk_f16 v188, v78, 0x33a8, v189
	v_mul_f16_e32 v192, 0x3b15, v140
	v_mul_f16_e32 v196, 0x388b, v142
	v_add_f16_e32 v193, v194, v193
	v_fmamk_f16 v194, v88, 0x388b, v200
	v_add_f16_e32 v187, v188, v187
	v_fmamk_f16 v188, v79, 0xbb7b, v190
	v_mul_f16_e32 v208, 0xbb7b, v147
	v_mul_f16_e32 v211, 0xb3a8, v149
	v_add_f16_e32 v193, v194, v193
	v_mul_f16_e32 v194, 0xba95, v144
	v_add_f16_e32 v187, v188, v187
	v_fmamk_f16 v188, v77, 0xb770, v192
	v_fmamk_f16 v210, v83, 0xb5ac, v208
	v_add_f16_e32 v70, v70, v69
	v_fmamk_f16 v207, v82, 0x388b, v194
	v_add_f16_e32 v124, v124, v121
	v_add_f16_e32 v187, v188, v187
	v_fmamk_f16 v188, v80, 0x3a95, v196
	v_mul_f16_e32 v213, 0x394e, v152
	v_add_f16_e32 v207, v69, v207
	v_add_f16_e32 v70, v73, v70
	;; [unrolled: 1-line block ×4, first 2 shown]
	v_mul_f16_e32 v188, 0x388b, v136
	v_add_f16_e32 v207, v210, v207
	v_fmamk_f16 v210, v84, 0xbbc4, v211
	v_mul_f16_e32 v136, 0x3b15, v136
	v_mul_f16_e32 v202, 0xb5ac, v137
	v_fmamk_f16 v201, v81, 0x3a95, v188
	v_mul_f16_e32 v206, 0xb94e, v160
	v_add_f16_e32 v207, v210, v207
	v_fmamk_f16 v210, v87, 0xb9fd, v213
	v_mul_f16_e32 v214, 0x3bf1, v156
	v_fmamk_f16 v215, v81, 0x3770, v136
	v_mul_f16_e32 v137, 0x388b, v137
	v_add_f16_e32 v70, v74, v70
	v_add_f16_e32 v124, v126, v124
	v_add_f16_e32 v201, v121, v201
	v_fmamk_f16 v204, v78, 0x3b7b, v202
	v_mul_f16_e32 v205, 0xbbc4, v138
	v_fmamk_f16 v212, v107, 0xb9fd, v206
	v_add_f16_e32 v207, v210, v207
	v_fmamk_f16 v210, v88, 0x2fb7, v214
	v_add_f16_e32 v215, v121, v215
	v_fmamk_f16 v217, v78, 0x3a95, v137
	v_mul_f16_e32 v138, 0x2fb7, v138
	v_mul_f16_e32 v144, 0xb770, v144
	v_add_f16_e32 v67, v67, v70
	v_add_f16_e32 v124, v127, v124
	;; [unrolled: 1-line block ×3, first 2 shown]
	v_mul_f16_e32 v204, 0xb9fd, v140
	v_add_f16_e32 v193, v212, v193
	v_add_f16_e32 v207, v210, v207
	v_add_f16_e32 v210, v217, v215
	v_fmamk_f16 v212, v79, 0x3bf1, v138
	v_mul_f16_e32 v140, 0xb5ac, v140
	v_fmamk_f16 v126, v82, 0x3b15, v144
	v_mul_f16_e32 v70, 0xba95, v147
	v_add_f16_e32 v67, v68, v67
	v_add_f16_e32 v123, v123, v124
	;; [unrolled: 1-line block ×3, first 2 shown]
	v_fmamk_f16 v128, v77, 0x3b7b, v140
	v_mul_f16_e32 v127, 0xb9fd, v142
	v_add_f16_e32 v126, v69, v126
	v_fmamk_f16 v68, v83, 0x388b, v70
	v_mul_f16_e32 v124, 0xbbf1, v149
	v_add_f16_e32 v67, v71, v67
	v_add_f16_e32 v71, v125, v123
	;; [unrolled: 1-line block ×3, first 2 shown]
	v_fmamk_f16 v128, v80, 0x394e, v127
	v_add_f16_e32 v68, v68, v126
	v_fmamk_f16 v123, v84, 0x2fb7, v124
	v_mul_f16_e32 v125, 0xbb7b, v152
	v_add_f16_e32 v67, v72, v67
	v_add_f16_e32 v71, v132, v71
	;; [unrolled: 1-line block ×4, first 2 shown]
	v_fmamk_f16 v73, v87, 0xb5ac, v125
	v_add_f16_e32 v67, v75, v67
	v_mul_f16_e32 v75, 0xb94e, v156
	v_add_f16_e32 v71, v130, v71
	v_mul_f16_e32 v215, 0x3770, v160
	v_add_f16_e32 v68, v73, v68
	v_add_f16_e32 v67, v76, v67
	v_fmamk_f16 v73, v88, 0xb9fd, v75
	v_add_f16_e32 v71, v131, v71
	v_mul_f16_e32 v76, 0xb3a8, v160
	v_mul_f16_e32 v123, 0xbbc4, v153
	v_add_f16_e32 v65, v65, v67
	v_add_f16_e32 v67, v73, v68
	;; [unrolled: 1-line block ×3, first 2 shown]
	v_fmamk_f16 v71, v107, 0xbbc4, v76
	v_fmamk_f16 v74, v107, 0x3b15, v215
	;; [unrolled: 1-line block ×3, first 2 shown]
	v_add_f16_e32 v65, v66, v65
	v_add_f16_e32 v68, v129, v68
	;; [unrolled: 1-line block ×3, first 2 shown]
	v_fma_f16 v71, v82, 0xbbc4, -v146
	v_fmac_f16_e32 v158, 0xb94e, v81
	v_fmac_f16_e32 v172, 0xbb7b, v81
	v_add_f16_e32 v68, v109, v68
	v_fma_f16 v109, v82, 0xb9fd, -v163
	v_add_f16_e32 v73, v74, v207
	v_add_f16_e32 v66, v126, v72
	;; [unrolled: 1-line block ×4, first 2 shown]
	v_fma_f16 v74, v83, 0x3b15, -v148
	v_add_f16_e32 v108, v121, v158
	v_fmac_f16_e32 v159, 0x3bf1, v78
	v_add_f16_e32 v109, v69, v109
	v_fma_f16 v122, v83, 0x2fb7, -v167
	v_add_f16_e32 v126, v121, v172
	v_fmac_f16_e32 v175, 0x394e, v78
	v_add_f16_e32 v71, v74, v71
	;; [unrolled: 4-line block ×7, first 2 shown]
	v_fma_f16 v122, v88, 0x3b15, -v166
	v_add_f16_e32 v126, v178, v126
	v_fmac_f16_e32 v182, 0x33a8, v80
	v_mul_f16_e32 v199, 0xb9fd, v153
	v_add_f16_e32 v71, v74, v71
	v_fma_f16 v74, v107, 0x2fb7, -v162
	v_add_f16_e32 v108, v168, v108
	v_fmac_f16_e32 v171, 0xbb7b, v85
	v_add_f16_e32 v109, v122, v109
	v_fma_f16 v122, v107, 0xb5ac, -v165
	v_add_f16_e32 v126, v182, v126
	v_fmac_f16_e32 v174, 0x3a95, v85
	v_fmamk_f16 v203, v85, 0x394e, v199
	v_add_f16_e32 v71, v74, v71
	v_add_f16_e32 v74, v171, v108
	v_fma_f16 v108, v82, 0xb5ac, -v177
	v_add_f16_e32 v109, v122, v109
	v_add_f16_e32 v122, v174, v126
	v_fma_f16 v126, v82, 0x2fb7, -v191
	v_fmac_f16_e32 v188, 0xba95, v81
	v_add_f16_e32 v187, v203, v187
	v_fmamk_f16 v203, v79, 0x33a8, v205
	v_add_f16_e32 v108, v69, v108
	v_fma_f16 v128, v83, 0xb9fd, -v181
	v_add_f16_e32 v126, v69, v126
	v_fma_f16 v129, v83, 0xbbc4, -v195
	v_add_f16_e32 v130, v121, v188
	v_fmac_f16_e32 v202, 0xbb7b, v78
	v_add_f16_e32 v201, v203, v201
	v_fmamk_f16 v203, v77, 0xb94e, v204
	v_mul_f16_e32 v209, 0x2fb7, v142
	v_add_f16_e32 v108, v128, v108
	v_fma_f16 v128, v84, 0x3b15, -v184
	v_add_f16_e32 v126, v129, v126
	v_fma_f16 v129, v84, 0xb5ac, -v198
	v_add_f16_e32 v130, v202, v130
	v_fmac_f16_e32 v205, 0xb3a8, v79
	v_add_f16_e32 v201, v203, v201
	v_fmamk_f16 v203, v80, 0xbbf1, v209
	v_add_f16_e32 v108, v128, v108
	v_fma_f16 v128, v87, 0x2fb7, -v183
	v_add_f16_e32 v126, v129, v126
	v_fma_f16 v129, v87, 0x3b15, -v197
	v_add_f16_e32 v130, v205, v130
	v_fmac_f16_e32 v204, 0x394e, v77
	v_add_f16_e32 v201, v203, v201
	v_mul_f16_e32 v203, 0x3b15, v153
	v_add_f16_e32 v108, v128, v108
	v_fma_f16 v128, v88, 0xbbc4, -v186
	v_add_f16_e32 v126, v129, v126
	v_fma_f16 v129, v88, 0x388b, -v200
	v_add_f16_e32 v130, v204, v130
	v_fmac_f16_e32 v209, 0x3bf1, v80
	v_fmac_f16_e32 v139, 0xb3a8, v81
	v_fmamk_f16 v216, v85, 0xb770, v203
	v_add_f16_e32 v108, v128, v108
	v_fma_f16 v128, v107, 0x388b, -v180
	v_fmac_f16_e32 v185, 0xbbf1, v81
	v_add_f16_e32 v126, v129, v126
	v_fma_f16 v129, v107, 0xb9fd, -v206
	v_add_f16_e32 v130, v209, v130
	v_fmac_f16_e32 v203, 0x3770, v85
	v_fma_f16 v131, v82, 0x388b, -v194
	v_fmac_f16_e32 v136, 0xb770, v81
	v_fma_f16 v82, v82, 0x3b15, -v144
	v_add_f16_e32 v72, v121, v139
	v_fmac_f16_e32 v141, 0x3770, v78
	v_add_f16_e32 v108, v128, v108
	v_add_f16_e32 v128, v121, v185
	v_fmac_f16_e32 v189, 0xb3a8, v78
	v_add_f16_e32 v126, v129, v126
	v_add_f16_e32 v81, v203, v130
	;; [unrolled: 1-line block ×3, first 2 shown]
	v_fma_f16 v130, v83, 0xb5ac, -v208
	v_add_f16_e32 v121, v121, v136
	v_fmac_f16_e32 v137, 0xba95, v78
	v_add_f16_e32 v69, v69, v82
	v_fma_f16 v70, v83, 0x388b, -v70
	v_add_f16_e32 v72, v141, v72
	v_fmac_f16_e32 v143, 0xb94e, v79
	v_add_f16_e32 v128, v189, v128
	v_fmac_f16_e32 v190, 0x3b7b, v79
	v_add_f16_e32 v78, v130, v129
	v_fma_f16 v82, v84, 0xbbc4, -v211
	v_add_f16_e32 v83, v137, v121
	v_fmac_f16_e32 v138, 0xbbf1, v79
	v_add_f16_e32 v69, v70, v69
	v_fma_f16 v70, v84, 0x2fb7, -v124
	v_add_f16_e32 v72, v143, v72
	v_fmac_f16_e32 v145, 0x3a95, v77
	v_add_f16_e32 v128, v190, v128
	v_fmac_f16_e32 v192, 0x3770, v77
	v_add_f16_e32 v78, v82, v78
	;; [unrolled: 10-line block ×3, first 2 shown]
	v_fma_f16 v78, v88, 0x2fb7, -v214
	v_add_f16_e32 v79, v140, v82
	v_fmac_f16_e32 v127, 0xb94e, v80
	v_add_f16_e32 v69, v70, v69
	v_fma_f16 v70, v88, 0xb9fd, -v75
	v_add_f16_e32 v201, v216, v201
	v_add_f16_e32 v72, v150, v72
	v_fmac_f16_e32 v155, 0x3bf1, v85
	v_add_f16_e32 v128, v196, v128
	v_fmac_f16_e32 v199, 0xb94e, v85
	v_add_f16_e32 v75, v78, v77
	v_fma_f16 v77, v107, 0x3b15, -v215
	v_add_f16_e32 v78, v127, v79
	v_fmac_f16_e32 v123, 0xb3a8, v85
	v_add_f16_e32 v69, v70, v69
	v_fma_f16 v70, v107, 0xbbc4, -v76
	v_lshl_add_u32 v76, v106, 2, v104
	v_pack_b32_f16 v66, v67, v66
	v_pack_b32_f16 v65, v65, v68
	v_add_f16_e32 v72, v155, v72
	v_pack_b32_f16 v67, v193, v187
	v_pack_b32_f16 v68, v73, v201
	v_add_f16_e32 v128, v199, v128
	v_add_f16_e32 v73, v77, v75
	v_add_f16_e32 v75, v123, v78
	v_add_f16_e32 v69, v70, v69
	ds_write2_b32 v76, v65, v66 offset1:1
	ds_write2_b32 v76, v68, v67 offset0:2 offset1:3
	v_pack_b32_f16 v65, v135, v134
	v_pack_b32_f16 v66, v179, v173
	;; [unrolled: 1-line block ×9, first 2 shown]
	ds_write2_b32 v76, v66, v65 offset0:4 offset1:5
	ds_write2_b32 v76, v68, v67 offset0:6 offset1:7
	;; [unrolled: 1-line block ×4, first 2 shown]
	ds_write_b32 v76, v69 offset:48
.LBB0_13:
	s_or_b32 exec_lo, exec_lo, s0
	v_add_nc_u32_e32 v74, 0x400, v89
	v_add_nc_u32_e32 v71, 0x800, v89
	;; [unrolled: 1-line block ×3, first 2 shown]
	s_waitcnt lgkmcnt(0)
	s_barrier
	buffer_gl0_inv
	ds_read2_b32 v[67:68], v89 offset1:65
	ds_read2_b32 v[65:66], v74 offset0:4 offset1:69
	ds_read2_b32 v[81:82], v71 offset0:138 offset1:203
	;; [unrolled: 1-line block ×3, first 2 shown]
	v_add_nc_u32_e32 v73, 0x1400, v89
	v_add_nc_u32_e32 v75, 0x1000, v89
	ds_read2_b32 v[85:86], v73 offset0:20 offset1:85
	ds_read2_b32 v[87:88], v74 offset0:134 offset1:199
	;; [unrolled: 1-line block ×8, first 2 shown]
	ds_read_b32 v130, v89 offset:6240
	s_waitcnt lgkmcnt(0)
	s_barrier
	buffer_gl0_inv
	s_mov_b32 s4, 0x6615bd85
	s_mov_b32 s5, 0x3f442a38
	v_lshrrev_b32_e32 v104, 16, v66
	v_lshrrev_b32_e32 v127, 16, v81
	;; [unrolled: 1-line block ×5, first 2 shown]
	v_mul_f16_sdwa v143, v4, v104 dst_sel:DWORD dst_unused:UNUSED_PAD src0_sel:WORD_1 src1_sel:DWORD
	v_mul_f16_sdwa v148, v5, v127 dst_sel:DWORD dst_unused:UNUSED_PAD src0_sel:WORD_1 src1_sel:DWORD
	;; [unrolled: 1-line block ×3, first 2 shown]
	v_lshrrev_b32_e32 v132, 16, v82
	v_lshrrev_b32_e32 v134, 16, v86
	v_fmac_f16_e32 v143, v4, v66
	v_mul_f16_sdwa v66, v4, v66 dst_sel:DWORD dst_unused:UNUSED_PAD src0_sel:WORD_1 src1_sel:DWORD
	v_mul_f16_sdwa v150, v6, v128 dst_sel:DWORD dst_unused:UNUSED_PAD src0_sel:WORD_1 src1_sel:DWORD
	;; [unrolled: 1-line block ×3, first 2 shown]
	v_fmac_f16_e32 v148, v5, v81
	v_fma_f16 v81, v5, v127, -v149
	v_fma_f16 v66, v4, v104, -v66
	v_mul_f16_sdwa v104, v7, v129 dst_sel:DWORD dst_unused:UNUSED_PAD src0_sel:WORD_1 src1_sel:DWORD
	v_mul_f16_sdwa v4, v7, v85 dst_sel:DWORD dst_unused:UNUSED_PAD src0_sel:WORD_1 src1_sel:DWORD
	;; [unrolled: 1-line block ×3, first 2 shown]
	v_lshrrev_b32_e32 v133, 16, v106
	v_lshrrev_b32_e32 v135, 16, v88
	v_fmac_f16_e32 v150, v6, v84
	v_fma_f16 v84, v6, v128, -v151
	v_mul_f16_sdwa v5, v12, v87 dst_sel:DWORD dst_unused:UNUSED_PAD src0_sel:WORD_1 src1_sel:DWORD
	v_mul_f16_sdwa v128, v13, v132 dst_sel:DWORD dst_unused:UNUSED_PAD src0_sel:WORD_1 src1_sel:DWORD
	v_fmac_f16_e32 v104, v7, v85
	v_fma_f16 v85, v7, v129, -v4
	v_fmac_f16_e32 v127, v12, v87
	v_mul_f16_sdwa v4, v13, v82 dst_sel:DWORD dst_unused:UNUSED_PAD src0_sel:WORD_1 src1_sel:DWORD
	v_mul_f16_sdwa v87, v15, v134 dst_sel:DWORD dst_unused:UNUSED_PAD src0_sel:WORD_1 src1_sel:DWORD
	v_lshrrev_b32_e32 v136, 16, v108
	v_lshrrev_b32_e32 v137, 16, v107
	;; [unrolled: 1-line block ×3, first 2 shown]
	v_fma_f16 v12, v12, v131, -v5
	v_fmac_f16_e32 v128, v13, v82
	v_mul_f16_sdwa v82, v14, v133 dst_sel:DWORD dst_unused:UNUSED_PAD src0_sel:WORD_1 src1_sel:DWORD
	v_mul_f16_sdwa v5, v14, v106 dst_sel:DWORD dst_unused:UNUSED_PAD src0_sel:WORD_1 src1_sel:DWORD
	;; [unrolled: 1-line block ×3, first 2 shown]
	v_fma_f16 v13, v13, v132, -v4
	v_fmac_f16_e32 v87, v15, v86
	v_mul_f16_sdwa v86, v16, v135 dst_sel:DWORD dst_unused:UNUSED_PAD src0_sel:WORD_1 src1_sel:DWORD
	v_mul_f16_sdwa v4, v16, v88 dst_sel:DWORD dst_unused:UNUSED_PAD src0_sel:WORD_1 src1_sel:DWORD
	v_lshrrev_b32_e32 v139, 16, v123
	v_lshrrev_b32_e32 v140, 16, v109
	v_fmac_f16_e32 v82, v14, v106
	v_fma_f16 v14, v14, v133, -v5
	v_mul_f16_sdwa v106, v17, v136 dst_sel:DWORD dst_unused:UNUSED_PAD src0_sel:WORD_1 src1_sel:DWORD
	v_mul_f16_sdwa v5, v17, v108 dst_sel:DWORD dst_unused:UNUSED_PAD src0_sel:WORD_1 src1_sel:DWORD
	;; [unrolled: 1-line block ×3, first 2 shown]
	v_fmac_f16_e32 v86, v16, v88
	v_fma_f16 v16, v16, v135, -v4
	v_mul_f16_sdwa v4, v18, v107 dst_sel:DWORD dst_unused:UNUSED_PAD src0_sel:WORD_1 src1_sel:DWORD
	v_mul_f16_sdwa v88, v19, v138 dst_sel:DWORD dst_unused:UNUSED_PAD src0_sel:WORD_1 src1_sel:DWORD
	v_lshrrev_b32_e32 v141, 16, v125
	v_lshrrev_b32_e32 v142, 16, v122
	;; [unrolled: 1-line block ×3, first 2 shown]
	v_fma_f16 v15, v15, v134, -v6
	v_fmac_f16_e32 v106, v17, v108
	v_fma_f16 v17, v17, v136, -v5
	v_fmac_f16_e32 v129, v18, v107
	v_mul_f16_sdwa v5, v19, v121 dst_sel:DWORD dst_unused:UNUSED_PAD src0_sel:WORD_1 src1_sel:DWORD
	v_mul_f16_sdwa v107, v8, v139 dst_sel:DWORD dst_unused:UNUSED_PAD src0_sel:WORD_1 src1_sel:DWORD
	;; [unrolled: 1-line block ×3, first 2 shown]
	v_fma_f16 v18, v18, v137, -v4
	v_fmac_f16_e32 v88, v19, v121
	v_mul_f16_sdwa v121, v9, v140 dst_sel:DWORD dst_unused:UNUSED_PAD src0_sel:WORD_1 src1_sel:DWORD
	v_mul_f16_sdwa v4, v9, v109 dst_sel:DWORD dst_unused:UNUSED_PAD src0_sel:WORD_1 src1_sel:DWORD
	v_lshrrev_b32_e32 v145, 16, v83
	v_fma_f16 v19, v19, v138, -v5
	v_fmac_f16_e32 v107, v8, v123
	v_fma_f16 v108, v8, v139, -v6
	v_mul_f16_sdwa v123, v10, v141 dst_sel:DWORD dst_unused:UNUSED_PAD src0_sel:WORD_1 src1_sel:DWORD
	v_mul_f16_sdwa v5, v10, v125 dst_sel:DWORD dst_unused:UNUSED_PAD src0_sel:WORD_1 src1_sel:DWORD
	v_mul_f16_sdwa v131, v11, v142 dst_sel:DWORD dst_unused:UNUSED_PAD src0_sel:WORD_1 src1_sel:DWORD
	v_fmac_f16_e32 v121, v9, v109
	v_fma_f16 v109, v9, v140, -v4
	v_mul_f16_sdwa v4, v11, v122 dst_sel:DWORD dst_unused:UNUSED_PAD src0_sel:WORD_1 src1_sel:DWORD
	v_mul_f16_sdwa v7, v0, v144 dst_sel:DWORD dst_unused:UNUSED_PAD src0_sel:WORD_1 src1_sel:DWORD
	v_mul_f16_sdwa v6, v0, v124 dst_sel:DWORD dst_unused:UNUSED_PAD src0_sel:WORD_1 src1_sel:DWORD
	v_lshrrev_b32_e32 v146, 16, v126
	v_lshrrev_b32_e32 v147, 16, v130
	v_fmac_f16_e32 v123, v10, v125
	v_fma_f16 v125, v10, v141, -v5
	v_fmac_f16_e32 v131, v11, v122
	v_mul_f16_sdwa v5, v1, v145 dst_sel:DWORD dst_unused:UNUSED_PAD src0_sel:WORD_1 src1_sel:DWORD
	v_mul_f16_sdwa v8, v1, v83 dst_sel:DWORD dst_unused:UNUSED_PAD src0_sel:WORD_1 src1_sel:DWORD
	v_fma_f16 v122, v11, v142, -v4
	v_fmac_f16_e32 v7, v0, v124
	v_fma_f16 v4, v0, v144, -v6
	v_add_f16_e32 v0, v148, v150
	v_mul_f16_sdwa v6, v2, v126 dst_sel:DWORD dst_unused:UNUSED_PAD src0_sel:WORD_1 src1_sel:DWORD
	v_add_f16_e32 v9, v67, v143
	v_fmac_f16_e32 v5, v1, v83
	v_fma_f16 v1, v1, v145, -v8
	v_mul_f16_sdwa v10, v2, v146 dst_sel:DWORD dst_unused:UNUSED_PAD src0_sel:WORD_1 src1_sel:DWORD
	v_mul_f16_sdwa v83, v3, v147 dst_sel:DWORD dst_unused:UNUSED_PAD src0_sel:WORD_1 src1_sel:DWORD
	v_fma_f16 v0, -0.5, v0, v67
	v_sub_f16_e32 v124, v66, v85
	v_fma_f16 v8, v2, v146, -v6
	v_add_f16_e32 v6, v9, v148
	v_lshrrev_b32_e32 v80, 16, v67
	v_fmac_f16_e32 v10, v2, v126
	v_fmac_f16_e32 v83, v3, v130
	v_fmamk_f16 v2, v124, 0xbb9c, v0
	v_sub_f16_e32 v126, v81, v84
	v_sub_f16_e32 v9, v143, v148
	;; [unrolled: 1-line block ×3, first 2 shown]
	v_add_f16_e32 v132, v143, v104
	v_mul_f16_sdwa v130, v3, v130 dst_sel:DWORD dst_unused:UNUSED_PAD src0_sel:WORD_1 src1_sel:DWORD
	v_add_f16_e32 v133, v6, v150
	v_fmac_f16_e32 v0, 0x3b9c, v124
	v_fmac_f16_e32 v2, 0xb8b4, v126
	v_add_f16_e32 v134, v9, v11
	v_fma_f16 v6, -0.5, v132, v67
	v_fma_f16 v11, v3, v147, -v130
	v_add_f16_e32 v3, v133, v104
	v_sub_f16_e32 v67, v148, v143
	v_sub_f16_e32 v130, v150, v104
	v_fmac_f16_e32 v0, 0x38b4, v126
	v_add_f16_e32 v132, v80, v66
	v_add_f16_e32 v133, v81, v84
	v_fmac_f16_e32 v2, 0x34f2, v134
	v_fmamk_f16 v9, v126, 0x3b9c, v6
	v_add_f16_e32 v67, v67, v130
	v_fmac_f16_e32 v6, 0xbb9c, v126
	v_add_f16_e32 v126, v132, v81
	v_fma_f16 v130, -0.5, v133, v80
	v_sub_f16_e32 v104, v143, v104
	v_fmac_f16_e32 v0, 0x34f2, v134
	v_add_f16_e32 v132, v66, v85
	v_sub_f16_e32 v134, v66, v81
	v_sub_f16_e32 v66, v81, v66
	;; [unrolled: 1-line block ×3, first 2 shown]
	v_fmac_f16_e32 v9, 0xb8b4, v124
	v_fmac_f16_e32 v6, 0x38b4, v124
	v_add_f16_e32 v124, v126, v84
	v_fmamk_f16 v126, v104, 0x3b9c, v130
	v_sub_f16_e32 v133, v148, v150
	v_sub_f16_e32 v135, v85, v84
	v_fmac_f16_e32 v80, -0.5, v132
	v_fmac_f16_e32 v130, 0xbb9c, v104
	v_add_f16_e32 v84, v128, v82
	v_add_f16_e32 v66, v66, v81
	;; [unrolled: 1-line block ×3, first 2 shown]
	v_lshrrev_b32_e32 v78, 16, v68
	v_fmac_f16_e32 v9, 0x34f2, v67
	v_fmac_f16_e32 v6, 0x34f2, v67
	v_add_f16_e32 v67, v124, v85
	v_fmac_f16_e32 v126, 0x38b4, v133
	v_add_f16_e32 v124, v134, v135
	v_fmamk_f16 v132, v133, 0xbb9c, v80
	v_fmac_f16_e32 v130, 0xb8b4, v133
	v_fma_f16 v84, -0.5, v84, v68
	v_sub_f16_e32 v85, v12, v15
	v_fmac_f16_e32 v80, 0x3b9c, v133
	v_add_f16_e32 v81, v81, v128
	v_sub_f16_e32 v134, v127, v128
	v_sub_f16_e32 v135, v87, v82
	v_add_f16_e32 v136, v127, v87
	v_fmac_f16_e32 v126, 0x34f2, v124
	v_fmac_f16_e32 v132, 0x38b4, v104
	;; [unrolled: 1-line block ×3, first 2 shown]
	v_fmamk_f16 v124, v85, 0xbb9c, v84
	v_sub_f16_e32 v133, v13, v14
	v_fmac_f16_e32 v80, 0xb8b4, v104
	v_add_f16_e32 v81, v81, v82
	v_add_f16_e32 v104, v134, v135
	v_fmac_f16_e32 v68, -0.5, v136
	v_fmac_f16_e32 v84, 0x3b9c, v85
	v_sub_f16_e32 v134, v128, v127
	v_sub_f16_e32 v135, v82, v87
	v_add_f16_e32 v136, v78, v12
	v_add_f16_e32 v137, v13, v14
	v_fmac_f16_e32 v132, 0x34f2, v66
	v_fmac_f16_e32 v124, 0xb8b4, v133
	;; [unrolled: 1-line block ×3, first 2 shown]
	v_add_f16_e32 v66, v81, v87
	v_fmamk_f16 v81, v133, 0x3b9c, v68
	v_fmac_f16_e32 v84, 0x38b4, v133
	v_add_f16_e32 v134, v134, v135
	v_fmac_f16_e32 v68, 0xbb9c, v133
	v_add_f16_e32 v133, v136, v13
	v_fma_f16 v135, -0.5, v137, v78
	v_sub_f16_e32 v87, v127, v87
	v_add_f16_e32 v127, v12, v15
	v_sub_f16_e32 v82, v128, v82
	v_sub_f16_e32 v128, v12, v13
	;; [unrolled: 1-line block ×4, first 2 shown]
	v_fmac_f16_e32 v124, 0x34f2, v104
	v_fmac_f16_e32 v81, 0xb8b4, v85
	;; [unrolled: 1-line block ×4, first 2 shown]
	v_add_f16_e32 v85, v133, v14
	v_fmamk_f16 v104, v87, 0x3b9c, v135
	v_sub_f16_e32 v133, v15, v14
	v_fmac_f16_e32 v78, -0.5, v127
	v_fmac_f16_e32 v135, 0xbb9c, v87
	v_add_f16_e32 v14, v106, v129
	v_add_f16_e32 v12, v12, v13
	;; [unrolled: 1-line block ×3, first 2 shown]
	v_lshrrev_b32_e32 v79, 16, v69
	v_add_f16_e32 v85, v85, v15
	v_fmac_f16_e32 v104, 0x38b4, v82
	v_add_f16_e32 v127, v128, v133
	v_fmamk_f16 v128, v82, 0xbb9c, v78
	v_fmac_f16_e32 v135, 0xb8b4, v82
	v_fma_f16 v14, -0.5, v14, v69
	v_sub_f16_e32 v15, v16, v19
	v_fmac_f16_e32 v78, 0x3b9c, v82
	v_add_f16_e32 v13, v13, v106
	v_add_f16_e32 v136, v86, v88
	v_fmac_f16_e32 v81, 0x34f2, v134
	v_fmac_f16_e32 v68, 0x34f2, v134
	;; [unrolled: 1-line block ×5, first 2 shown]
	v_fmamk_f16 v82, v15, 0xbb9c, v14
	v_sub_f16_e32 v127, v17, v18
	v_sub_f16_e32 v133, v86, v106
	;; [unrolled: 1-line block ×3, first 2 shown]
	v_fmac_f16_e32 v78, 0xb8b4, v87
	v_add_f16_e32 v13, v13, v129
	v_fma_f16 v69, -0.5, v136, v69
	v_fmac_f16_e32 v14, 0x3b9c, v15
	v_add_f16_e32 v136, v79, v16
	v_fmac_f16_e32 v128, 0x34f2, v12
	v_fmac_f16_e32 v82, 0xb8b4, v127
	v_add_f16_e32 v87, v133, v134
	v_fmac_f16_e32 v78, 0x34f2, v12
	v_add_f16_e32 v12, v13, v88
	v_fmamk_f16 v13, v127, 0x3b9c, v69
	v_sub_f16_e32 v133, v106, v86
	v_sub_f16_e32 v134, v129, v88
	v_fmac_f16_e32 v14, 0x38b4, v127
	v_add_f16_e32 v137, v17, v18
	v_fmac_f16_e32 v69, 0xbb9c, v127
	v_add_f16_e32 v127, v136, v17
	;; [unrolled: 2-line block ×3, first 2 shown]
	v_fma_f16 v134, -0.5, v137, v79
	v_sub_f16_e32 v86, v86, v88
	v_fmac_f16_e32 v69, 0x38b4, v15
	v_add_f16_e32 v15, v127, v18
	v_add_f16_e32 v88, v16, v19
	v_sub_f16_e32 v127, v16, v17
	v_sub_f16_e32 v16, v17, v16
	;; [unrolled: 1-line block ×3, first 2 shown]
	v_fmac_f16_e32 v82, 0x34f2, v87
	v_fmac_f16_e32 v14, 0x34f2, v87
	v_fmamk_f16 v87, v86, 0x3b9c, v134
	v_sub_f16_e32 v106, v106, v129
	v_sub_f16_e32 v129, v19, v18
	v_fmac_f16_e32 v79, -0.5, v88
	v_fmac_f16_e32 v134, 0xbb9c, v86
	v_add_f16_e32 v18, v121, v123
	v_add_f16_e32 v16, v16, v17
	v_add_f16_e32 v17, v70, v107
	v_lshrrev_b32_e32 v77, 16, v70
	v_add_f16_e32 v15, v15, v19
	v_fmac_f16_e32 v87, 0x38b4, v106
	v_add_f16_e32 v88, v127, v129
	v_fmamk_f16 v127, v106, 0xbb9c, v79
	v_fmac_f16_e32 v134, 0xb8b4, v106
	v_fma_f16 v18, -0.5, v18, v70
	v_sub_f16_e32 v19, v108, v122
	v_fmac_f16_e32 v79, 0x3b9c, v106
	v_add_f16_e32 v17, v17, v121
	v_add_f16_e32 v136, v107, v131
	v_fmac_f16_e32 v13, 0x34f2, v133
	v_fmac_f16_e32 v69, 0x34f2, v133
	;; [unrolled: 1-line block ×5, first 2 shown]
	v_fmamk_f16 v88, v19, 0xbb9c, v18
	v_sub_f16_e32 v106, v109, v125
	v_sub_f16_e32 v129, v107, v121
	;; [unrolled: 1-line block ×3, first 2 shown]
	v_fmac_f16_e32 v79, 0xb8b4, v86
	v_add_f16_e32 v17, v17, v123
	v_fmac_f16_e32 v70, -0.5, v136
	v_fmac_f16_e32 v18, 0x3b9c, v19
	v_add_f16_e32 v136, v77, v108
	v_fmac_f16_e32 v127, 0x34f2, v16
	v_fmac_f16_e32 v88, 0xb8b4, v106
	v_add_f16_e32 v86, v129, v133
	v_fmac_f16_e32 v79, 0x34f2, v16
	v_add_f16_e32 v16, v17, v131
	v_fmamk_f16 v17, v106, 0x3b9c, v70
	v_sub_f16_e32 v129, v121, v107
	v_sub_f16_e32 v133, v123, v131
	v_fmac_f16_e32 v18, 0x38b4, v106
	v_add_f16_e32 v137, v109, v125
	v_fmac_f16_e32 v70, 0xbb9c, v106
	v_add_f16_e32 v106, v136, v109
	;; [unrolled: 2-line block ×3, first 2 shown]
	v_fma_f16 v133, -0.5, v137, v77
	v_sub_f16_e32 v107, v107, v131
	v_fmac_f16_e32 v70, 0x38b4, v19
	v_add_f16_e32 v19, v106, v125
	v_add_f16_e32 v106, v108, v122
	v_fmac_f16_e32 v88, 0x34f2, v86
	v_fmac_f16_e32 v18, 0x34f2, v86
	v_fmamk_f16 v86, v107, 0x3b9c, v133
	v_sub_f16_e32 v121, v121, v123
	v_sub_f16_e32 v123, v108, v109
	;; [unrolled: 1-line block ×3, first 2 shown]
	v_fmac_f16_e32 v77, -0.5, v106
	v_add_f16_e32 v19, v19, v122
	v_fmac_f16_e32 v133, 0xbb9c, v107
	v_sub_f16_e32 v108, v109, v108
	v_sub_f16_e32 v109, v125, v122
	v_add_f16_e32 v122, v5, v10
	v_fmac_f16_e32 v86, 0x38b4, v121
	v_add_f16_e32 v106, v123, v131
	v_fmamk_f16 v123, v121, 0xbb9c, v77
	v_fmac_f16_e32 v133, 0xb8b4, v121
	v_add_f16_e32 v108, v108, v109
	v_fmac_f16_e32 v77, 0x3b9c, v121
	v_add_f16_e32 v109, v65, v7
	v_fma_f16 v121, -0.5, v122, v65
	v_sub_f16_e32 v122, v4, v11
	v_fmac_f16_e32 v17, 0x34f2, v129
	v_fmac_f16_e32 v70, 0x34f2, v129
	;; [unrolled: 1-line block ×6, first 2 shown]
	v_add_f16_e32 v106, v109, v5
	v_fmamk_f16 v107, v122, 0xbb9c, v121
	v_sub_f16_e32 v109, v1, v8
	v_sub_f16_e32 v125, v7, v5
	;; [unrolled: 1-line block ×3, first 2 shown]
	v_fmac_f16_e32 v121, 0x3b9c, v122
	v_add_f16_e32 v131, v7, v83
	v_lshrrev_b32_e32 v76, 16, v65
	v_add_f16_e32 v106, v106, v10
	v_fmac_f16_e32 v107, 0xb8b4, v109
	v_add_f16_e32 v125, v125, v129
	v_fmac_f16_e32 v121, 0x38b4, v109
	v_fmac_f16_e32 v65, -0.5, v131
	v_sub_f16_e32 v129, v5, v7
	v_sub_f16_e32 v131, v10, v83
	v_fmac_f16_e32 v123, 0x34f2, v108
	v_fmac_f16_e32 v77, 0x34f2, v108
	v_add_f16_e32 v106, v106, v83
	v_fmac_f16_e32 v107, 0x34f2, v125
	v_fmac_f16_e32 v121, 0x34f2, v125
	v_fmamk_f16 v108, v109, 0x3b9c, v65
	v_add_f16_e32 v125, v1, v8
	v_fmac_f16_e32 v65, 0xbb9c, v109
	v_sub_f16_e32 v7, v7, v83
	v_add_f16_e32 v83, v129, v131
	v_add_f16_e32 v129, v4, v11
	;; [unrolled: 1-line block ×3, first 2 shown]
	v_fma_f16 v125, -0.5, v125, v76
	v_fmac_f16_e32 v108, 0xb8b4, v122
	v_fmac_f16_e32 v65, 0x38b4, v122
	v_sub_f16_e32 v5, v5, v10
	v_fmac_f16_e32 v76, -0.5, v129
	v_add_f16_e32 v109, v109, v1
	v_fmac_f16_e32 v108, 0x34f2, v83
	v_fmac_f16_e32 v65, 0x34f2, v83
	v_sub_f16_e32 v83, v4, v1
	v_fmamk_f16 v129, v5, 0xbb9c, v76
	v_sub_f16_e32 v1, v1, v4
	v_sub_f16_e32 v4, v8, v11
	v_fmac_f16_e32 v76, 0x3b9c, v5
	v_fmamk_f16 v122, v7, 0x3b9c, v125
	v_add_f16_e32 v10, v109, v8
	v_sub_f16_e32 v109, v11, v8
	v_fmac_f16_e32 v125, 0xbb9c, v7
	v_fmac_f16_e32 v129, 0x38b4, v7
	v_add_f16_e32 v1, v1, v4
	v_fmac_f16_e32 v76, 0xb8b4, v7
	v_fmac_f16_e32 v122, 0x38b4, v5
	v_add_f16_e32 v8, v83, v109
	v_fmac_f16_e32 v125, 0xb8b4, v5
	v_fmac_f16_e32 v129, 0x34f2, v1
	;; [unrolled: 1-line block ×3, first 2 shown]
	v_pack_b32_f16 v1, v3, v67
	v_pack_b32_f16 v2, v2, v126
	;; [unrolled: 1-line block ×7, first 2 shown]
	v_fmac_f16_e32 v122, 0x34f2, v8
	v_fmac_f16_e32 v125, 0x34f2, v8
	v_pack_b32_f16 v8, v81, v128
	v_pack_b32_f16 v9, v68, v78
	ds_write2_b32 v111, v1, v2 offset1:13
	ds_write2_b32 v111, v3, v5 offset0:26 offset1:39
	ds_write_b32 v111, v0 offset:208
	ds_write2_b32 v110, v6, v7 offset1:13
	ds_write2_b32 v110, v8, v9 offset0:26 offset1:39
	v_pack_b32_f16 v0, v84, v135
	v_pack_b32_f16 v1, v12, v15
	;; [unrolled: 1-line block ×3, first 2 shown]
	v_add_f16_e32 v4, v10, v11
	v_pack_b32_f16 v3, v13, v127
	v_pack_b32_f16 v5, v69, v79
	;; [unrolled: 1-line block ×5, first 2 shown]
	ds_write_b32 v110, v0 offset:208
	ds_write2_b32 v112, v1, v2 offset1:13
	ds_write2_b32 v112, v3, v5 offset0:26 offset1:39
	ds_write_b32 v112, v6 offset:208
	ds_write2_b32 v113, v7, v8 offset1:13
	v_pack_b32_f16 v0, v17, v123
	v_pack_b32_f16 v1, v70, v77
	;; [unrolled: 1-line block ×8, first 2 shown]
	ds_write2_b32 v113, v0, v1 offset0:26 offset1:39
	ds_write_b32 v113, v2 offset:208
	ds_write2_b32 v114, v3, v4 offset1:13
	ds_write2_b32 v114, v5, v6 offset0:26 offset1:39
	ds_write_b32 v114, v7 offset:208
	s_waitcnt lgkmcnt(0)
	s_barrier
	buffer_gl0_inv
	ds_read2_b32 v[2:3], v89 offset1:65
	ds_read2_b32 v[0:1], v74 offset0:4 offset1:69
	ds_read2_b32 v[11:12], v71 offset0:138 offset1:203
	;; [unrolled: 1-line block ×11, first 2 shown]
	ds_read_b32 v83, v89 offset:6240
	s_waitcnt lgkmcnt(0)
	s_barrier
	buffer_gl0_inv
	v_lshrrev_b32_e32 v10, 16, v2
	v_lshrrev_b32_e32 v19, 16, v1
	;; [unrolled: 1-line block ×4, first 2 shown]
	v_mul_f16_sdwa v126, v38, v14 dst_sel:DWORD dst_unused:UNUSED_PAD src0_sel:WORD_1 src1_sel:DWORD
	v_lshrrev_b32_e32 v84, 16, v17
	v_mul_f16_sdwa v112, v36, v19 dst_sel:DWORD dst_unused:UNUSED_PAD src0_sel:WORD_1 src1_sel:DWORD
	v_mul_f16_sdwa v123, v37, v80 dst_sel:DWORD dst_unused:UNUSED_PAD src0_sel:WORD_1 src1_sel:DWORD
	v_lshrrev_b32_e32 v82, 16, v15
	v_lshrrev_b32_e32 v85, 16, v12
	v_lshrrev_b32_e32 v86, 16, v65
	v_fmac_f16_e32 v112, v36, v1
	v_mul_f16_sdwa v1, v36, v1 dst_sel:DWORD dst_unused:UNUSED_PAD src0_sel:WORD_1 src1_sel:DWORD
	v_mul_f16_sdwa v124, v37, v11 dst_sel:DWORD dst_unused:UNUSED_PAD src0_sel:WORD_1 src1_sel:DWORD
	;; [unrolled: 1-line block ×3, first 2 shown]
	v_fmac_f16_e32 v123, v37, v11
	v_fma_f16 v81, v38, v81, -v126
	v_fma_f16 v127, v36, v19, -v1
	v_mul_f16_sdwa v1, v39, v15 dst_sel:DWORD dst_unused:UNUSED_PAD src0_sel:WORD_1 src1_sel:DWORD
	v_mul_f16_sdwa v126, v36, v84 dst_sel:DWORD dst_unused:UNUSED_PAD src0_sel:WORD_1 src1_sel:DWORD
	;; [unrolled: 1-line block ×3, first 2 shown]
	v_lshrrev_b32_e32 v88, 16, v18
	v_lshrrev_b32_e32 v106, 16, v66
	v_fma_f16 v80, v37, v80, -v124
	v_mul_f16_sdwa v124, v39, v82 dst_sel:DWORD dst_unused:UNUSED_PAD src0_sel:WORD_1 src1_sel:DWORD
	v_mul_f16_sdwa v128, v37, v85 dst_sel:DWORD dst_unused:UNUSED_PAD src0_sel:WORD_1 src1_sel:DWORD
	v_fma_f16 v82, v39, v82, -v1
	v_fmac_f16_e32 v126, v36, v17
	v_fma_f16 v36, v36, v84, -v11
	v_mul_f16_sdwa v1, v37, v12 dst_sel:DWORD dst_unused:UNUSED_PAD src0_sel:WORD_1 src1_sel:DWORD
	v_mul_f16_sdwa v84, v38, v86 dst_sel:DWORD dst_unused:UNUSED_PAD src0_sel:WORD_1 src1_sel:DWORD
	;; [unrolled: 1-line block ×3, first 2 shown]
	v_lshrrev_b32_e32 v104, 16, v67
	v_lshrrev_b32_e32 v107, 16, v69
	v_fmac_f16_e32 v125, v38, v14
	v_fmac_f16_e32 v128, v37, v12
	v_fma_f16 v37, v37, v85, -v1
	v_fmac_f16_e32 v84, v38, v65
	v_fma_f16 v38, v38, v86, -v11
	v_mul_f16_sdwa v65, v28, v88 dst_sel:DWORD dst_unused:UNUSED_PAD src0_sel:WORD_1 src1_sel:DWORD
	v_mul_f16_sdwa v1, v28, v18 dst_sel:DWORD dst_unused:UNUSED_PAD src0_sel:WORD_1 src1_sel:DWORD
	;; [unrolled: 1-line block ×3, first 2 shown]
	v_lshrrev_b32_e32 v87, 16, v16
	v_lshrrev_b32_e32 v109, 16, v68
	v_mul_f16_sdwa v85, v29, v104 dst_sel:DWORD dst_unused:UNUSED_PAD src0_sel:WORD_1 src1_sel:DWORD
	v_mul_f16_sdwa v11, v29, v67 dst_sel:DWORD dst_unused:UNUSED_PAD src0_sel:WORD_1 src1_sel:DWORD
	v_fmac_f16_e32 v65, v28, v18
	v_fma_f16 v28, v28, v88, -v1
	v_fmac_f16_e32 v86, v30, v66
	v_mul_f16_sdwa v1, v30, v66 dst_sel:DWORD dst_unused:UNUSED_PAD src0_sel:WORD_1 src1_sel:DWORD
	v_mul_f16_sdwa v66, v31, v107 dst_sel:DWORD dst_unused:UNUSED_PAD src0_sel:WORD_1 src1_sel:DWORD
	v_lshrrev_b32_e32 v108, 16, v76
	v_lshrrev_b32_e32 v111, 16, v70
	v_mul_f16_sdwa v129, v39, v87 dst_sel:DWORD dst_unused:UNUSED_PAD src0_sel:WORD_1 src1_sel:DWORD
	v_mul_f16_sdwa v12, v39, v16 dst_sel:DWORD dst_unused:UNUSED_PAD src0_sel:WORD_1 src1_sel:DWORD
	v_fmac_f16_e32 v85, v29, v67
	v_fma_f16 v29, v29, v104, -v11
	v_mul_f16_sdwa v11, v31, v69 dst_sel:DWORD dst_unused:UNUSED_PAD src0_sel:WORD_1 src1_sel:DWORD
	v_fma_f16 v30, v30, v106, -v1
	v_fmac_f16_e32 v66, v31, v69
	v_mul_f16_sdwa v69, v25, v109 dst_sel:DWORD dst_unused:UNUSED_PAD src0_sel:WORD_1 src1_sel:DWORD
	v_mul_f16_sdwa v1, v25, v68 dst_sel:DWORD dst_unused:UNUSED_PAD src0_sel:WORD_1 src1_sel:DWORD
	v_lshrrev_b32_e32 v110, 16, v78
	v_lshrrev_b32_e32 v114, 16, v13
	v_fmac_f16_e32 v124, v39, v15
	v_fmac_f16_e32 v129, v39, v16
	v_fma_f16 v39, v39, v87, -v12
	v_mul_f16_sdwa v67, v24, v108 dst_sel:DWORD dst_unused:UNUSED_PAD src0_sel:WORD_1 src1_sel:DWORD
	v_mul_f16_sdwa v87, v27, v111 dst_sel:DWORD dst_unused:UNUSED_PAD src0_sel:WORD_1 src1_sel:DWORD
	v_fmac_f16_e32 v69, v25, v68
	v_fma_f16 v25, v25, v109, -v1
	v_mul_f16_sdwa v1, v27, v70 dst_sel:DWORD dst_unused:UNUSED_PAD src0_sel:WORD_1 src1_sel:DWORD
	v_lshrrev_b32_e32 v113, 16, v77
	v_lshrrev_b32_e32 v121, 16, v79
	v_mul_f16_sdwa v12, v24, v76 dst_sel:DWORD dst_unused:UNUSED_PAD src0_sel:WORD_1 src1_sel:DWORD
	v_fma_f16 v31, v31, v107, -v11
	v_fmac_f16_e32 v67, v24, v76
	v_mul_f16_sdwa v76, v26, v110 dst_sel:DWORD dst_unused:UNUSED_PAD src0_sel:WORD_1 src1_sel:DWORD
	v_mul_f16_sdwa v11, v26, v78 dst_sel:DWORD dst_unused:UNUSED_PAD src0_sel:WORD_1 src1_sel:DWORD
	v_fmac_f16_e32 v87, v27, v70
	v_mul_f16_sdwa v14, v21, v114 dst_sel:DWORD dst_unused:UNUSED_PAD src0_sel:WORD_1 src1_sel:DWORD
	v_fma_f16 v27, v27, v111, -v1
	v_add_f16_e32 v1, v123, v125
	v_lshrrev_b32_e32 v122, 16, v83
	v_fma_f16 v24, v24, v108, -v12
	v_fmac_f16_e32 v76, v26, v78
	v_fma_f16 v26, v26, v110, -v11
	v_mul_f16_sdwa v15, v20, v113 dst_sel:DWORD dst_unused:UNUSED_PAD src0_sel:WORD_1 src1_sel:DWORD
	v_mul_f16_sdwa v11, v20, v77 dst_sel:DWORD dst_unused:UNUSED_PAD src0_sel:WORD_1 src1_sel:DWORD
	;; [unrolled: 1-line block ×3, first 2 shown]
	v_fmac_f16_e32 v14, v21, v13
	v_mul_f16_sdwa v19, v22, v121 dst_sel:DWORD dst_unused:UNUSED_PAD src0_sel:WORD_1 src1_sel:DWORD
	v_mul_f16_sdwa v13, v22, v79 dst_sel:DWORD dst_unused:UNUSED_PAD src0_sel:WORD_1 src1_sel:DWORD
	v_fma_f16 v1, -0.5, v1, v2
	v_sub_f16_e32 v68, v127, v82
	v_fmac_f16_e32 v15, v20, v77
	v_fma_f16 v11, v20, v113, -v11
	v_fma_f16 v12, v21, v114, -v12
	v_mul_f16_sdwa v21, v23, v122 dst_sel:DWORD dst_unused:UNUSED_PAD src0_sel:WORD_1 src1_sel:DWORD
	v_fmac_f16_e32 v19, v22, v79
	v_fma_f16 v16, v22, v121, -v13
	v_fmamk_f16 v13, v68, 0xbb9c, v1
	v_sub_f16_e32 v22, v80, v81
	v_sub_f16_e32 v18, v112, v123
	;; [unrolled: 1-line block ×3, first 2 shown]
	v_add_f16_e32 v70, v112, v124
	v_mul_f16_sdwa v77, v23, v83 dst_sel:DWORD dst_unused:UNUSED_PAD src0_sel:WORD_1 src1_sel:DWORD
	v_fmac_f16_e32 v1, 0x3b9c, v68
	v_add_f16_e32 v17, v2, v112
	v_fmac_f16_e32 v21, v23, v83
	v_fmac_f16_e32 v13, 0xb8b4, v22
	v_add_f16_e32 v78, v18, v20
	v_fma_f16 v2, -0.5, v70, v2
	v_fma_f16 v20, v23, v122, -v77
	v_sub_f16_e32 v23, v123, v112
	v_sub_f16_e32 v70, v125, v124
	v_fmac_f16_e32 v1, 0x38b4, v22
	v_add_f16_e32 v77, v10, v127
	v_add_f16_e32 v79, v80, v81
	v_fmac_f16_e32 v13, 0x34f2, v78
	v_fmamk_f16 v18, v22, 0x3b9c, v2
	v_add_f16_e32 v23, v23, v70
	v_fmac_f16_e32 v2, 0xbb9c, v22
	v_add_f16_e32 v22, v77, v80
	v_fma_f16 v70, -0.5, v79, v10
	v_sub_f16_e32 v77, v112, v124
	v_fmac_f16_e32 v1, 0x34f2, v78
	v_add_f16_e32 v78, v127, v82
	v_fmac_f16_e32 v18, 0xb8b4, v68
	v_fmac_f16_e32 v2, 0x38b4, v68
	v_add_f16_e32 v22, v22, v81
	v_fmamk_f16 v68, v77, 0x3b9c, v70
	v_sub_f16_e32 v79, v123, v125
	v_sub_f16_e32 v83, v127, v80
	;; [unrolled: 1-line block ×3, first 2 shown]
	v_fmac_f16_e32 v10, -0.5, v78
	v_fmac_f16_e32 v70, 0xbb9c, v77
	v_sub_f16_e32 v80, v80, v127
	v_sub_f16_e32 v81, v81, v82
	v_fmac_f16_e32 v18, 0x34f2, v23
	v_fmac_f16_e32 v2, 0x34f2, v23
	v_add_f16_e32 v22, v22, v82
	v_fmac_f16_e32 v68, 0x38b4, v79
	v_add_f16_e32 v23, v83, v88
	v_fmamk_f16 v78, v79, 0xbb9c, v10
	v_add_f16_e32 v82, v128, v84
	v_fmac_f16_e32 v70, 0xb8b4, v79
	v_add_f16_e32 v80, v80, v81
	v_add_f16_e32 v81, v3, v126
	v_fmac_f16_e32 v10, 0x3b9c, v79
	v_add_f16_e32 v106, v126, v129
	v_lshrrev_b32_e32 v8, 16, v3
	v_fmac_f16_e32 v68, 0x34f2, v23
	v_fmac_f16_e32 v78, 0x38b4, v77
	v_fma_f16 v82, -0.5, v82, v3
	v_sub_f16_e32 v83, v36, v39
	v_fmac_f16_e32 v70, 0x34f2, v23
	v_add_f16_e32 v23, v81, v128
	v_sub_f16_e32 v81, v37, v38
	v_sub_f16_e32 v88, v126, v128
	;; [unrolled: 1-line block ×3, first 2 shown]
	v_fmac_f16_e32 v10, 0xb8b4, v77
	v_fmac_f16_e32 v3, -0.5, v106
	v_fmac_f16_e32 v78, 0x34f2, v80
	v_fmamk_f16 v79, v83, 0xbb9c, v82
	v_add_f16_e32 v77, v88, v104
	v_fmac_f16_e32 v10, 0x34f2, v80
	v_fmac_f16_e32 v82, 0x3b9c, v83
	v_fmamk_f16 v80, v81, 0x3b9c, v3
	v_sub_f16_e32 v88, v128, v126
	v_sub_f16_e32 v104, v84, v129
	v_add_f16_e32 v106, v8, v36
	v_add_f16_e32 v107, v37, v38
	v_fmac_f16_e32 v3, 0xbb9c, v81
	v_fmac_f16_e32 v79, 0xb8b4, v81
	;; [unrolled: 1-line block ×4, first 2 shown]
	v_add_f16_e32 v88, v88, v104
	v_add_f16_e32 v81, v106, v37
	v_fma_f16 v104, -0.5, v107, v8
	v_sub_f16_e32 v106, v126, v129
	v_fmac_f16_e32 v3, 0x38b4, v83
	v_add_f16_e32 v83, v36, v39
	v_sub_f16_e32 v107, v36, v37
	v_sub_f16_e32 v36, v37, v36
	;; [unrolled: 1-line block ×3, first 2 shown]
	v_add_f16_e32 v23, v23, v84
	v_fmac_f16_e32 v79, 0x34f2, v77
	v_fmac_f16_e32 v82, 0x34f2, v77
	v_add_f16_e32 v77, v81, v38
	v_fmamk_f16 v81, v106, 0x3b9c, v104
	v_sub_f16_e32 v84, v128, v84
	v_sub_f16_e32 v108, v39, v38
	v_fmac_f16_e32 v8, -0.5, v83
	v_fmac_f16_e32 v104, 0xbb9c, v106
	v_add_f16_e32 v38, v85, v86
	v_add_f16_e32 v36, v36, v37
	;; [unrolled: 1-line block ×3, first 2 shown]
	v_lshrrev_b32_e32 v9, 16, v4
	v_fmac_f16_e32 v80, 0x34f2, v88
	v_fmac_f16_e32 v3, 0x34f2, v88
	v_add_f16_e32 v77, v77, v39
	v_fmac_f16_e32 v81, 0x38b4, v84
	v_add_f16_e32 v83, v107, v108
	v_fmamk_f16 v88, v84, 0xbb9c, v8
	v_fmac_f16_e32 v104, 0xb8b4, v84
	v_fma_f16 v38, -0.5, v38, v4
	v_sub_f16_e32 v39, v28, v31
	v_fmac_f16_e32 v8, 0x3b9c, v84
	v_add_f16_e32 v37, v37, v85
	v_add_f16_e32 v109, v65, v66
	v_fmac_f16_e32 v81, 0x34f2, v83
	v_fmac_f16_e32 v88, 0x38b4, v106
	;; [unrolled: 1-line block ×3, first 2 shown]
	v_fmamk_f16 v83, v39, 0xbb9c, v38
	v_sub_f16_e32 v84, v29, v30
	v_sub_f16_e32 v107, v65, v85
	v_sub_f16_e32 v108, v66, v86
	v_fmac_f16_e32 v8, 0xb8b4, v106
	v_add_f16_e32 v37, v37, v86
	v_fma_f16 v4, -0.5, v109, v4
	v_fmac_f16_e32 v38, 0x3b9c, v39
	v_add_f16_e32 v109, v9, v28
	v_fmac_f16_e32 v88, 0x34f2, v36
	v_fmac_f16_e32 v83, 0xb8b4, v84
	v_add_f16_e32 v106, v107, v108
	v_fmac_f16_e32 v8, 0x34f2, v36
	v_add_f16_e32 v36, v37, v66
	v_fmamk_f16 v37, v84, 0x3b9c, v4
	v_sub_f16_e32 v107, v85, v65
	v_sub_f16_e32 v108, v86, v66
	v_fmac_f16_e32 v38, 0x38b4, v84
	v_add_f16_e32 v110, v29, v30
	v_fmac_f16_e32 v4, 0xbb9c, v84
	v_add_f16_e32 v84, v109, v29
	;; [unrolled: 2-line block ×3, first 2 shown]
	v_fma_f16 v108, -0.5, v110, v9
	v_sub_f16_e32 v65, v65, v66
	v_fmac_f16_e32 v4, 0x38b4, v39
	v_add_f16_e32 v39, v84, v30
	v_add_f16_e32 v84, v28, v31
	v_sub_f16_e32 v85, v85, v86
	v_sub_f16_e32 v86, v28, v29
	v_sub_f16_e32 v28, v29, v28
	v_sub_f16_e32 v29, v30, v31
	v_fmac_f16_e32 v83, 0x34f2, v106
	v_fmac_f16_e32 v38, 0x34f2, v106
	v_fmamk_f16 v66, v65, 0x3b9c, v108
	v_sub_f16_e32 v106, v31, v30
	v_fmac_f16_e32 v9, -0.5, v84
	v_fmac_f16_e32 v108, 0xbb9c, v65
	v_add_f16_e32 v30, v69, v76
	v_add_f16_e32 v28, v28, v29
	;; [unrolled: 1-line block ×3, first 2 shown]
	v_lshrrev_b32_e32 v7, 16, v5
	v_add_f16_e32 v39, v39, v31
	v_fmac_f16_e32 v66, 0x38b4, v85
	v_add_f16_e32 v84, v86, v106
	v_fmamk_f16 v86, v85, 0xbb9c, v9
	v_fmac_f16_e32 v108, 0xb8b4, v85
	v_fma_f16 v30, -0.5, v30, v5
	v_sub_f16_e32 v31, v24, v27
	v_fmac_f16_e32 v9, 0x3b9c, v85
	v_add_f16_e32 v29, v29, v69
	v_add_f16_e32 v109, v67, v87
	v_fmac_f16_e32 v37, 0x34f2, v107
	v_fmac_f16_e32 v4, 0x34f2, v107
	;; [unrolled: 1-line block ×5, first 2 shown]
	v_fmamk_f16 v84, v31, 0xbb9c, v30
	v_sub_f16_e32 v85, v25, v26
	v_sub_f16_e32 v106, v67, v69
	;; [unrolled: 1-line block ×3, first 2 shown]
	v_fmac_f16_e32 v9, 0xb8b4, v65
	v_add_f16_e32 v29, v29, v76
	v_fmac_f16_e32 v5, -0.5, v109
	v_fmac_f16_e32 v30, 0x3b9c, v31
	v_add_f16_e32 v109, v7, v24
	v_fmac_f16_e32 v86, 0x34f2, v28
	v_fmac_f16_e32 v84, 0xb8b4, v85
	v_add_f16_e32 v65, v106, v107
	v_fmac_f16_e32 v9, 0x34f2, v28
	v_add_f16_e32 v28, v29, v87
	v_fmamk_f16 v29, v85, 0x3b9c, v5
	v_sub_f16_e32 v106, v69, v67
	v_sub_f16_e32 v107, v76, v87
	v_fmac_f16_e32 v30, 0x38b4, v85
	v_add_f16_e32 v110, v25, v26
	v_fmac_f16_e32 v5, 0xbb9c, v85
	v_add_f16_e32 v85, v109, v25
	;; [unrolled: 2-line block ×3, first 2 shown]
	v_fma_f16 v107, -0.5, v110, v7
	v_sub_f16_e32 v67, v67, v87
	v_fmac_f16_e32 v5, 0x38b4, v31
	v_add_f16_e32 v31, v85, v26
	v_add_f16_e32 v85, v24, v27
	v_fmac_f16_e32 v84, 0x34f2, v65
	v_fmac_f16_e32 v30, 0x34f2, v65
	v_fmamk_f16 v65, v67, 0x3b9c, v107
	v_sub_f16_e32 v69, v69, v76
	v_sub_f16_e32 v76, v24, v25
	;; [unrolled: 1-line block ×3, first 2 shown]
	v_fmac_f16_e32 v7, -0.5, v85
	v_fmac_f16_e32 v107, 0xbb9c, v67
	v_sub_f16_e32 v24, v25, v24
	v_sub_f16_e32 v25, v26, v27
	v_add_f16_e32 v26, v14, v19
	v_add_f16_e32 v31, v31, v27
	v_fmac_f16_e32 v65, 0x38b4, v69
	v_add_f16_e32 v76, v76, v87
	v_fmamk_f16 v85, v69, 0xbb9c, v7
	v_fmac_f16_e32 v107, 0xb8b4, v69
	v_add_f16_e32 v24, v24, v25
	v_fmac_f16_e32 v7, 0x3b9c, v69
	v_add_f16_e32 v25, v0, v15
	v_fma_f16 v26, -0.5, v26, v0
	v_sub_f16_e32 v27, v11, v20
	v_fmac_f16_e32 v29, 0x34f2, v106
	v_fmac_f16_e32 v5, 0x34f2, v106
	;; [unrolled: 1-line block ×6, first 2 shown]
	v_add_f16_e32 v25, v25, v14
	v_fmamk_f16 v67, v27, 0xbb9c, v26
	v_sub_f16_e32 v69, v12, v16
	v_sub_f16_e32 v76, v15, v14
	;; [unrolled: 1-line block ×3, first 2 shown]
	v_fmac_f16_e32 v26, 0x3b9c, v27
	v_add_f16_e32 v106, v15, v21
	v_lshrrev_b32_e32 v6, 16, v0
	v_add_f16_e32 v25, v25, v19
	v_fmac_f16_e32 v67, 0xb8b4, v69
	v_add_f16_e32 v76, v76, v87
	v_fmac_f16_e32 v26, 0x38b4, v69
	v_fmac_f16_e32 v0, -0.5, v106
	v_sub_f16_e32 v87, v14, v15
	v_sub_f16_e32 v106, v19, v21
	v_fmac_f16_e32 v85, 0x34f2, v24
	v_fmac_f16_e32 v7, 0x34f2, v24
	v_add_f16_e32 v24, v25, v21
	v_fmac_f16_e32 v67, 0x34f2, v76
	v_fmac_f16_e32 v26, 0x34f2, v76
	v_fmamk_f16 v25, v69, 0x3b9c, v0
	v_add_f16_e32 v76, v12, v16
	v_fmac_f16_e32 v0, 0xbb9c, v69
	v_sub_f16_e32 v15, v15, v21
	v_add_f16_e32 v21, v87, v106
	v_add_f16_e32 v87, v11, v20
	;; [unrolled: 1-line block ×4, first 2 shown]
	v_fma_f16 v76, -0.5, v76, v6
	v_fmac_f16_e32 v25, 0xb8b4, v27
	v_fmac_f16_e32 v0, 0x38b4, v27
	v_sub_f16_e32 v14, v14, v19
	v_fmac_f16_e32 v6, -0.5, v87
	v_add_f16_e32 v27, v69, v12
	v_add_f16_e32 v17, v17, v125
	v_fmac_f16_e32 v25, 0x34f2, v21
	v_fmac_f16_e32 v0, 0x34f2, v21
	v_sub_f16_e32 v21, v11, v12
	v_fmamk_f16 v87, v14, 0xbb9c, v6
	v_sub_f16_e32 v11, v12, v11
	v_sub_f16_e32 v12, v16, v20
	v_fmac_f16_e32 v6, 0x3b9c, v14
	v_fmamk_f16 v69, v15, 0x3b9c, v76
	v_add_f16_e32 v19, v27, v16
	v_sub_f16_e32 v27, v20, v16
	v_fmac_f16_e32 v76, 0xbb9c, v15
	v_add_f16_e32 v17, v17, v124
	v_fmac_f16_e32 v87, 0x38b4, v15
	v_add_f16_e32 v11, v11, v12
	;; [unrolled: 2-line block ×4, first 2 shown]
	v_fmac_f16_e32 v76, 0xb8b4, v14
	v_fmac_f16_e32 v87, 0x34f2, v11
	;; [unrolled: 1-line block ×3, first 2 shown]
	v_pack_b32_f16 v11, v17, v22
	v_pack_b32_f16 v13, v13, v68
	;; [unrolled: 1-line block ×6, first 2 shown]
	v_fmac_f16_e32 v69, 0x34f2, v16
	v_fmac_f16_e32 v76, 0x34f2, v16
	v_pack_b32_f16 v15, v79, v81
	v_pack_b32_f16 v16, v80, v88
	ds_write2_b32 v89, v11, v13 offset1:65
	ds_write2_b32 v89, v14, v2 offset0:130 offset1:195
	ds_write2_b32 v74, v1, v10 offset0:4 offset1:69
	;; [unrolled: 1-line block ×3, first 2 shown]
	v_pack_b32_f16 v1, v3, v8
	v_pack_b32_f16 v2, v82, v104
	;; [unrolled: 1-line block ×4, first 2 shown]
	v_add_nc_u32_e32 v10, 0x800, v115
	v_add_f16_e32 v12, v19, v20
	v_pack_b32_f16 v11, v37, v86
	v_pack_b32_f16 v4, v4, v9
	v_add_nc_u32_e32 v9, 0xc00, v115
	v_pack_b32_f16 v13, v38, v108
	v_pack_b32_f16 v14, v28, v31
	;; [unrolled: 1-line block ×3, first 2 shown]
	v_add_nc_u32_e32 v16, 0xe00, v116
	ds_write2_b32 v71, v1, v2 offset0:8 offset1:73
	ds_write2_b32 v10, v3, v8 offset0:138 offset1:203
	;; [unrolled: 1-line block ×3, first 2 shown]
	ds_write_b32 v115, v13 offset:3640
	ds_write2_b32 v16, v14, v15 offset0:79 offset1:144
	v_pack_b32_f16 v1, v29, v85
	v_pack_b32_f16 v2, v5, v7
	v_add_nc_u32_e32 v3, 0x1000, v116
	v_pack_b32_f16 v4, v30, v107
	v_pack_b32_f16 v5, v24, v12
	;; [unrolled: 1-line block ×3, first 2 shown]
	v_add_nc_u32_e32 v8, 0x1400, v117
	v_pack_b32_f16 v9, v25, v87
	v_pack_b32_f16 v0, v0, v6
	;; [unrolled: 1-line block ×3, first 2 shown]
	ds_write2_b32 v3, v1, v2 offset0:81 offset1:146
	ds_write_b32 v116, v4 offset:4940
	ds_write2_b32 v8, v5, v7 offset0:20 offset1:85
	ds_write2_b32 v8, v9, v0 offset0:150 offset1:215
	ds_write_b32 v117, v6 offset:6240
	s_waitcnt lgkmcnt(0)
	s_barrier
	buffer_gl0_inv
	ds_read2_b32 v[4:5], v89 offset1:65
	ds_read2_b32 v[0:1], v74 offset0:4 offset1:69
	ds_read2_b32 v[11:12], v71 offset0:138 offset1:203
	;; [unrolled: 1-line block ×11, first 2 shown]
	ds_read_b32 v37, v89 offset:6240
	s_waitcnt lgkmcnt(12)
	v_lshrrev_b32_e32 v10, 16, v4
	s_waitcnt lgkmcnt(11)
	v_lshrrev_b32_e32 v13, 16, v1
	;; [unrolled: 2-line block ×6, first 2 shown]
	v_mul_f16_sdwa v75, v48, v13 dst_sel:DWORD dst_unused:UNUSED_PAD src0_sel:WORD_1 src1_sel:DWORD
	v_lshrrev_b32_e32 v39, 16, v12
	v_mul_f16_sdwa v80, v49, v30 dst_sel:DWORD dst_unused:UNUSED_PAD src0_sel:WORD_1 src1_sel:DWORD
	v_mul_f16_sdwa v81, v49, v11 dst_sel:DWORD dst_unused:UNUSED_PAD src0_sel:WORD_1 src1_sel:DWORD
	;; [unrolled: 1-line block ×3, first 2 shown]
	v_fmac_f16_e32 v75, v48, v1
	v_mul_f16_sdwa v1, v48, v1 dst_sel:DWORD dst_unused:UNUSED_PAD src0_sel:WORD_1 src1_sel:DWORD
	v_mul_f16_sdwa v83, v50, v15 dst_sel:DWORD dst_unused:UNUSED_PAD src0_sel:WORD_1 src1_sel:DWORD
	s_waitcnt lgkmcnt(6)
	v_lshrrev_b32_e32 v65, 16, v20
	v_lshrrev_b32_e32 v66, 16, v17
	v_fmac_f16_e32 v80, v49, v11
	v_fma_f16 v48, v48, v13, -v1
	v_fma_f16 v30, v49, v30, -v81
	v_fmac_f16_e32 v82, v50, v15
	v_fma_f16 v31, v50, v31, -v83
	v_mul_f16_sdwa v49, v51, v36 dst_sel:DWORD dst_unused:UNUSED_PAD src0_sel:WORD_1 src1_sel:DWORD
	v_mul_f16_sdwa v1, v51, v16 dst_sel:DWORD dst_unused:UNUSED_PAD src0_sel:WORD_1 src1_sel:DWORD
	;; [unrolled: 1-line block ×5, first 2 shown]
	v_lshrrev_b32_e32 v67, 16, v19
	s_waitcnt lgkmcnt(4)
	v_lshrrev_b32_e32 v68, 16, v22
	v_fmac_f16_e32 v49, v51, v16
	v_fma_f16 v36, v51, v36, -v1
	v_fmac_f16_e32 v50, v52, v18
	v_fma_f16 v38, v52, v38, -v11
	v_fmac_f16_e32 v81, v53, v12
	v_mul_f16_sdwa v1, v53, v12 dst_sel:DWORD dst_unused:UNUSED_PAD src0_sel:WORD_1 src1_sel:DWORD
	v_mul_f16_sdwa v51, v54, v65 dst_sel:DWORD dst_unused:UNUSED_PAD src0_sel:WORD_1 src1_sel:DWORD
	;; [unrolled: 1-line block ×5, first 2 shown]
	v_lshrrev_b32_e32 v69, 16, v21
	s_waitcnt lgkmcnt(2)
	v_lshrrev_b32_e32 v71, 16, v26
	v_fma_f16 v39, v53, v39, -v1
	v_fmac_f16_e32 v51, v54, v20
	v_fma_f16 v20, v54, v65, -v11
	v_fmac_f16_e32 v52, v55, v17
	v_fma_f16 v53, v55, v66, -v12
	v_mul_f16_sdwa v54, v44, v67 dst_sel:DWORD dst_unused:UNUSED_PAD src0_sel:WORD_1 src1_sel:DWORD
	v_mul_f16_sdwa v1, v44, v19 dst_sel:DWORD dst_unused:UNUSED_PAD src0_sel:WORD_1 src1_sel:DWORD
	;; [unrolled: 1-line block ×4, first 2 shown]
	v_lshrrev_b32_e32 v70, 16, v24
	v_lshrrev_b32_e32 v72, 16, v23
	v_mul_f16_sdwa v65, v46, v69 dst_sel:DWORD dst_unused:UNUSED_PAD src0_sel:WORD_1 src1_sel:DWORD
	v_fmac_f16_e32 v54, v44, v19
	v_fma_f16 v44, v44, v67, -v1
	v_fmac_f16_e32 v55, v45, v22
	v_fma_f16 v22, v45, v68, -v11
	v_mul_f16_sdwa v1, v46, v21 dst_sel:DWORD dst_unused:UNUSED_PAD src0_sel:WORD_1 src1_sel:DWORD
	v_mul_f16_sdwa v45, v40, v71 dst_sel:DWORD dst_unused:UNUSED_PAD src0_sel:WORD_1 src1_sel:DWORD
	;; [unrolled: 1-line block ×3, first 2 shown]
	s_waitcnt lgkmcnt(1)
	v_lshrrev_b32_e32 v73, 16, v28
	v_lshrrev_b32_e32 v74, 16, v25
	;; [unrolled: 1-line block ×3, first 2 shown]
	v_fmac_f16_e32 v65, v46, v21
	v_mul_f16_sdwa v21, v47, v70 dst_sel:DWORD dst_unused:UNUSED_PAD src0_sel:WORD_1 src1_sel:DWORD
	v_mul_f16_sdwa v11, v47, v24 dst_sel:DWORD dst_unused:UNUSED_PAD src0_sel:WORD_1 src1_sel:DWORD
	v_fma_f16 v46, v46, v69, -v1
	v_fmac_f16_e32 v45, v40, v26
	v_fma_f16 v26, v40, v71, -v12
	v_mul_f16_sdwa v40, v41, v72 dst_sel:DWORD dst_unused:UNUSED_PAD src0_sel:WORD_1 src1_sel:DWORD
	v_mul_f16_sdwa v1, v41, v23 dst_sel:DWORD dst_unused:UNUSED_PAD src0_sel:WORD_1 src1_sel:DWORD
	v_lshrrev_b32_e32 v76, 16, v27
	v_lshrrev_b32_e32 v78, 16, v29
	v_fmac_f16_e32 v21, v47, v24
	v_fma_f16 v24, v47, v70, -v11
	v_mul_f16_sdwa v47, v42, v73 dst_sel:DWORD dst_unused:UNUSED_PAD src0_sel:WORD_1 src1_sel:DWORD
	v_mul_f16_sdwa v11, v42, v28 dst_sel:DWORD dst_unused:UNUSED_PAD src0_sel:WORD_1 src1_sel:DWORD
	;; [unrolled: 1-line block ×3, first 2 shown]
	v_fmac_f16_e32 v40, v41, v23
	v_fma_f16 v23, v41, v72, -v1
	v_mul_f16_sdwa v1, v43, v25 dst_sel:DWORD dst_unused:UNUSED_PAD src0_sel:WORD_1 src1_sel:DWORD
	v_mul_f16_sdwa v13, v33, v77 dst_sel:DWORD dst_unused:UNUSED_PAD src0_sel:WORD_1 src1_sel:DWORD
	s_waitcnt lgkmcnt(0)
	v_lshrrev_b32_e32 v79, 16, v37
	v_fmac_f16_e32 v47, v42, v28
	v_fma_f16 v28, v42, v73, -v11
	v_fmac_f16_e32 v66, v43, v25
	v_mul_f16_sdwa v15, v32, v76 dst_sel:DWORD dst_unused:UNUSED_PAD src0_sel:WORD_1 src1_sel:DWORD
	v_mul_f16_sdwa v11, v32, v27 dst_sel:DWORD dst_unused:UNUSED_PAD src0_sel:WORD_1 src1_sel:DWORD
	;; [unrolled: 1-line block ×3, first 2 shown]
	v_fma_f16 v25, v43, v74, -v1
	v_fmac_f16_e32 v13, v33, v14
	v_add_f16_e32 v1, v80, v82
	v_mul_f16_sdwa v17, v34, v78 dst_sel:DWORD dst_unused:UNUSED_PAD src0_sel:WORD_1 src1_sel:DWORD
	v_mul_f16_sdwa v14, v34, v29 dst_sel:DWORD dst_unused:UNUSED_PAD src0_sel:WORD_1 src1_sel:DWORD
	v_add_f16_e32 v18, v4, v75
	v_fmac_f16_e32 v15, v32, v27
	v_fma_f16 v11, v32, v76, -v11
	v_mul_f16_sdwa v27, v35, v79 dst_sel:DWORD dst_unused:UNUSED_PAD src0_sel:WORD_1 src1_sel:DWORD
	v_fma_f16 v1, -0.5, v1, v4
	v_sub_f16_e32 v32, v48, v36
	v_fmac_f16_e32 v17, v34, v29
	v_fma_f16 v16, v34, v78, -v14
	v_add_f16_e32 v18, v18, v80
	v_add_f16_e32 v34, v75, v49
	v_fma_f16 v12, v33, v77, -v12
	v_fmac_f16_e32 v27, v35, v37
	v_fmamk_f16 v14, v32, 0xbb9c, v1
	v_sub_f16_e32 v29, v30, v31
	v_sub_f16_e32 v19, v75, v80
	;; [unrolled: 1-line block ×3, first 2 shown]
	v_mul_f16_sdwa v37, v35, v37 dst_sel:DWORD dst_unused:UNUSED_PAD src0_sel:WORD_1 src1_sel:DWORD
	v_add_f16_e32 v18, v18, v82
	v_fma_f16 v4, -0.5, v34, v4
	v_fmac_f16_e32 v1, 0x3b9c, v32
	v_add_f16_e32 v41, v10, v48
	v_fmac_f16_e32 v14, 0xb8b4, v29
	v_add_f16_e32 v33, v19, v33
	v_fma_f16 v34, v35, v79, -v37
	v_add_f16_e32 v19, v18, v49
	v_fmamk_f16 v18, v29, 0x3b9c, v4
	v_sub_f16_e32 v35, v80, v75
	v_sub_f16_e32 v37, v82, v49
	v_fmac_f16_e32 v1, 0x38b4, v29
	v_add_f16_e32 v42, v30, v31
	v_fmac_f16_e32 v4, 0xbb9c, v29
	v_add_f16_e32 v29, v41, v30
	;; [unrolled: 2-line block ×3, first 2 shown]
	v_fma_f16 v37, -0.5, v42, v10
	v_sub_f16_e32 v41, v75, v49
	v_fmac_f16_e32 v1, 0x34f2, v33
	v_add_f16_e32 v29, v29, v31
	v_add_f16_e32 v33, v48, v36
	v_sub_f16_e32 v43, v48, v30
	v_sub_f16_e32 v49, v36, v31
	;; [unrolled: 1-line block ×4, first 2 shown]
	v_fmac_f16_e32 v18, 0xb8b4, v32
	v_fmac_f16_e32 v4, 0x38b4, v32
	v_fmamk_f16 v32, v41, 0x3b9c, v37
	v_sub_f16_e32 v42, v80, v82
	v_fmac_f16_e32 v10, -0.5, v33
	v_add_f16_e32 v29, v29, v36
	v_fmac_f16_e32 v37, 0xbb9c, v41
	v_add_f16_e32 v36, v81, v51
	v_add_f16_e32 v30, v30, v31
	;; [unrolled: 1-line block ×3, first 2 shown]
	v_lshrrev_b32_e32 v9, 16, v5
	v_fmac_f16_e32 v18, 0x34f2, v35
	v_fmac_f16_e32 v4, 0x34f2, v35
	;; [unrolled: 1-line block ×3, first 2 shown]
	v_add_f16_e32 v33, v43, v49
	v_fmamk_f16 v35, v42, 0xbb9c, v10
	v_fmac_f16_e32 v37, 0xb8b4, v42
	v_fma_f16 v36, -0.5, v36, v5
	v_sub_f16_e32 v43, v38, v53
	v_fmac_f16_e32 v10, 0x3b9c, v42
	v_add_f16_e32 v31, v31, v81
	v_add_f16_e32 v67, v50, v52
	v_fmac_f16_e32 v32, 0x34f2, v33
	v_fmac_f16_e32 v35, 0x38b4, v41
	;; [unrolled: 1-line block ×3, first 2 shown]
	v_fmamk_f16 v33, v43, 0xbb9c, v36
	v_sub_f16_e32 v42, v39, v20
	v_sub_f16_e32 v48, v50, v81
	;; [unrolled: 1-line block ×3, first 2 shown]
	v_fmac_f16_e32 v10, 0xb8b4, v41
	v_add_f16_e32 v31, v31, v51
	v_fmac_f16_e32 v5, -0.5, v67
	v_fmac_f16_e32 v36, 0x3b9c, v43
	v_add_f16_e32 v67, v9, v38
	v_fmac_f16_e32 v35, 0x34f2, v30
	v_fmac_f16_e32 v33, 0xb8b4, v42
	v_add_f16_e32 v41, v48, v49
	v_fmac_f16_e32 v10, 0x34f2, v30
	v_add_f16_e32 v30, v31, v52
	v_fmamk_f16 v31, v42, 0x3b9c, v5
	v_sub_f16_e32 v48, v81, v50
	v_sub_f16_e32 v49, v51, v52
	v_fmac_f16_e32 v36, 0x38b4, v42
	v_add_f16_e32 v68, v39, v20
	v_fmac_f16_e32 v5, 0xbb9c, v42
	v_add_f16_e32 v42, v67, v39
	v_fmac_f16_e32 v33, 0x34f2, v41
	v_fmac_f16_e32 v31, 0xb8b4, v43
	v_add_f16_e32 v48, v48, v49
	v_fma_f16 v49, -0.5, v68, v9
	v_sub_f16_e32 v50, v50, v52
	v_fmac_f16_e32 v36, 0x34f2, v41
	v_fmac_f16_e32 v5, 0x38b4, v43
	v_add_f16_e32 v41, v42, v20
	v_add_f16_e32 v43, v38, v53
	v_sub_f16_e32 v52, v38, v39
	v_sub_f16_e32 v67, v53, v20
	;; [unrolled: 1-line block ×4, first 2 shown]
	v_fmamk_f16 v42, v50, 0x3b9c, v49
	v_sub_f16_e32 v51, v81, v51
	v_fmac_f16_e32 v9, -0.5, v43
	v_fmac_f16_e32 v49, 0xbb9c, v50
	v_add_f16_e32 v39, v55, v65
	v_add_f16_e32 v20, v38, v20
	;; [unrolled: 1-line block ×3, first 2 shown]
	v_lshrrev_b32_e32 v8, 16, v2
	v_fmac_f16_e32 v31, 0x34f2, v48
	v_fmac_f16_e32 v5, 0x34f2, v48
	;; [unrolled: 1-line block ×3, first 2 shown]
	v_add_f16_e32 v43, v52, v67
	v_fmamk_f16 v48, v51, 0xbb9c, v9
	v_fmac_f16_e32 v49, 0xb8b4, v51
	v_fma_f16 v39, -0.5, v39, v2
	v_sub_f16_e32 v52, v44, v24
	v_fmac_f16_e32 v9, 0x3b9c, v51
	v_add_f16_e32 v38, v38, v55
	v_add_f16_e32 v68, v54, v21
	;; [unrolled: 1-line block ×3, first 2 shown]
	v_fmac_f16_e32 v42, 0x34f2, v43
	v_fmac_f16_e32 v48, 0x38b4, v50
	;; [unrolled: 1-line block ×3, first 2 shown]
	v_fmamk_f16 v43, v52, 0xbb9c, v39
	v_sub_f16_e32 v51, v22, v46
	v_sub_f16_e32 v53, v54, v55
	v_sub_f16_e32 v67, v21, v65
	v_fmac_f16_e32 v9, 0xb8b4, v50
	v_add_f16_e32 v38, v38, v65
	v_fma_f16 v2, -0.5, v68, v2
	v_fmac_f16_e32 v39, 0x3b9c, v52
	v_add_f16_e32 v68, v8, v44
	v_fmac_f16_e32 v48, 0x34f2, v20
	v_fmac_f16_e32 v43, 0xb8b4, v51
	v_add_f16_e32 v50, v53, v67
	v_fmac_f16_e32 v9, 0x34f2, v20
	v_add_f16_e32 v20, v38, v21
	v_fmamk_f16 v38, v51, 0x3b9c, v2
	v_sub_f16_e32 v53, v55, v54
	v_sub_f16_e32 v67, v65, v21
	v_fmac_f16_e32 v39, 0x38b4, v51
	v_add_f16_e32 v69, v22, v46
	v_fmac_f16_e32 v2, 0xbb9c, v51
	v_add_f16_e32 v51, v68, v22
	v_fmac_f16_e32 v43, 0x34f2, v50
	v_fmac_f16_e32 v38, 0xb8b4, v52
	v_add_f16_e32 v53, v53, v67
	v_fma_f16 v67, -0.5, v69, v8
	v_sub_f16_e32 v21, v54, v21
	v_fmac_f16_e32 v39, 0x34f2, v50
	v_fmac_f16_e32 v2, 0x38b4, v52
	v_add_f16_e32 v50, v51, v46
	v_add_f16_e32 v52, v44, v24
	v_fmamk_f16 v51, v21, 0x3b9c, v67
	v_sub_f16_e32 v54, v55, v65
	v_sub_f16_e32 v55, v44, v22
	;; [unrolled: 1-line block ×3, first 2 shown]
	v_fmac_f16_e32 v8, -0.5, v52
	v_add_f16_e32 v50, v50, v24
	v_fmac_f16_e32 v67, 0xbb9c, v21
	v_sub_f16_e32 v22, v22, v44
	v_sub_f16_e32 v24, v46, v24
	v_add_f16_e32 v44, v40, v47
	v_lshrrev_b32_e32 v7, 16, v3
	v_fmac_f16_e32 v38, 0x34f2, v53
	v_fmac_f16_e32 v2, 0x34f2, v53
	;; [unrolled: 1-line block ×3, first 2 shown]
	v_add_f16_e32 v52, v55, v65
	v_fmamk_f16 v53, v54, 0xbb9c, v8
	v_fmac_f16_e32 v67, 0xb8b4, v54
	v_add_f16_e32 v22, v22, v24
	v_add_f16_e32 v24, v3, v45
	v_fma_f16 v44, -0.5, v44, v3
	v_sub_f16_e32 v46, v26, v25
	v_fmac_f16_e32 v8, 0x3b9c, v54
	v_add_f16_e32 v68, v45, v66
	v_fmac_f16_e32 v51, 0x34f2, v52
	v_fmac_f16_e32 v53, 0x38b4, v21
	;; [unrolled: 1-line block ×3, first 2 shown]
	v_add_f16_e32 v24, v24, v40
	v_fmamk_f16 v52, v46, 0xbb9c, v44
	v_sub_f16_e32 v54, v23, v28
	v_sub_f16_e32 v55, v45, v40
	v_sub_f16_e32 v65, v66, v47
	v_fmac_f16_e32 v8, 0xb8b4, v21
	v_fmac_f16_e32 v3, -0.5, v68
	v_fmac_f16_e32 v44, 0x3b9c, v46
	v_add_f16_e32 v68, v7, v26
	v_fmac_f16_e32 v53, 0x34f2, v22
	v_add_f16_e32 v21, v24, v47
	;; [unrolled: 2-line block ×3, first 2 shown]
	v_fmac_f16_e32 v8, 0x34f2, v22
	v_fmamk_f16 v22, v54, 0x3b9c, v3
	v_sub_f16_e32 v55, v40, v45
	v_sub_f16_e32 v65, v47, v66
	v_fmac_f16_e32 v44, 0x38b4, v54
	v_add_f16_e32 v69, v23, v28
	v_fmac_f16_e32 v3, 0xbb9c, v54
	v_add_f16_e32 v54, v68, v23
	;; [unrolled: 2-line block ×3, first 2 shown]
	v_fma_f16 v65, -0.5, v69, v7
	v_sub_f16_e32 v45, v45, v66
	v_fmac_f16_e32 v44, 0x34f2, v24
	v_add_f16_e32 v24, v54, v28
	v_add_f16_e32 v54, v26, v25
	;; [unrolled: 1-line block ×3, first 2 shown]
	v_fmac_f16_e32 v22, 0xb8b4, v46
	v_fmac_f16_e32 v3, 0x38b4, v46
	v_fmamk_f16 v46, v45, 0x3b9c, v65
	v_sub_f16_e32 v40, v40, v47
	v_sub_f16_e32 v47, v26, v23
	;; [unrolled: 1-line block ×3, first 2 shown]
	v_fmac_f16_e32 v7, -0.5, v54
	v_fmac_f16_e32 v65, 0xbb9c, v45
	v_sub_f16_e32 v23, v23, v26
	v_add_f16_e32 v26, v13, v17
	v_add_f16_e32 v24, v24, v25
	v_fmac_f16_e32 v46, 0x38b4, v40
	v_add_f16_e32 v47, v47, v66
	v_fmamk_f16 v54, v40, 0xbb9c, v7
	v_sub_f16_e32 v25, v28, v25
	v_fmac_f16_e32 v65, 0xb8b4, v40
	v_fmac_f16_e32 v7, 0x3b9c, v40
	v_fma_f16 v26, -0.5, v26, v0
	v_sub_f16_e32 v28, v11, v34
	v_fmac_f16_e32 v22, 0x34f2, v55
	v_fmac_f16_e32 v3, 0x34f2, v55
	;; [unrolled: 1-line block ×4, first 2 shown]
	v_add_f16_e32 v23, v23, v25
	v_add_f16_e32 v25, v0, v15
	v_fmac_f16_e32 v65, 0x34f2, v47
	v_fmac_f16_e32 v7, 0xb8b4, v45
	v_fmamk_f16 v40, v28, 0xbb9c, v26
	v_sub_f16_e32 v45, v12, v16
	v_sub_f16_e32 v47, v15, v13
	;; [unrolled: 1-line block ×3, first 2 shown]
	v_fmac_f16_e32 v26, 0x3b9c, v28
	v_lshrrev_b32_e32 v6, 16, v0
	v_add_f16_e32 v25, v25, v13
	v_add_f16_e32 v66, v15, v27
	v_fmac_f16_e32 v40, 0xb8b4, v45
	v_add_f16_e32 v47, v47, v55
	v_fmac_f16_e32 v26, 0x38b4, v45
	v_add_f16_e32 v25, v25, v17
	v_fmac_f16_e32 v0, -0.5, v66
	v_add_f16_e32 v55, v12, v16
	v_fmac_f16_e32 v40, 0x34f2, v47
	v_fmac_f16_e32 v26, 0x34f2, v47
	v_add_f16_e32 v47, v6, v11
	v_fmac_f16_e32 v54, 0x34f2, v23
	v_fmac_f16_e32 v7, 0x34f2, v23
	v_add_f16_e32 v23, v25, v27
	v_fmamk_f16 v25, v45, 0x3b9c, v0
	v_sub_f16_e32 v66, v13, v15
	v_sub_f16_e32 v68, v17, v27
	v_fmac_f16_e32 v0, 0xbb9c, v45
	v_add_f16_e32 v45, v47, v12
	v_fma_f16 v47, -0.5, v55, v6
	v_add_f16_e32 v55, v11, v34
	v_sub_f16_e32 v15, v15, v27
	v_fmac_f16_e32 v25, 0xb8b4, v28
	v_add_f16_e32 v27, v66, v68
	v_fmac_f16_e32 v0, 0x38b4, v28
	v_sub_f16_e32 v13, v13, v17
	v_fmac_f16_e32 v6, -0.5, v55
	v_add_f16_e32 v28, v45, v16
	v_fmac_f16_e32 v25, 0x34f2, v27
	v_fmac_f16_e32 v0, 0x34f2, v27
	v_sub_f16_e32 v27, v11, v12
	v_fmamk_f16 v55, v13, 0xbb9c, v6
	v_sub_f16_e32 v11, v12, v11
	v_sub_f16_e32 v12, v16, v34
	v_fmac_f16_e32 v6, 0x3b9c, v13
	v_fmamk_f16 v45, v15, 0x3b9c, v47
	v_add_f16_e32 v17, v28, v34
	v_sub_f16_e32 v28, v34, v16
	v_fmac_f16_e32 v47, 0xbb9c, v15
	v_fmac_f16_e32 v55, 0x38b4, v15
	v_add_f16_e32 v11, v11, v12
	v_fmac_f16_e32 v6, 0xb8b4, v15
	v_pack_b32_f16 v12, v19, v29
	v_fmac_f16_e32 v45, 0x38b4, v13
	v_add_f16_e32 v16, v27, v28
	v_fmac_f16_e32 v47, 0xb8b4, v13
	v_fmac_f16_e32 v55, 0x34f2, v11
	v_fmac_f16_e32 v6, 0x34f2, v11
	v_pack_b32_f16 v11, v14, v32
	v_pack_b32_f16 v4, v4, v10
	;; [unrolled: 1-line block ×3, first 2 shown]
	v_add_nc_u32_e32 v13, 0x400, v105
	ds_write_b32 v89, v12
	v_pack_b32_f16 v12, v18, v35
	v_pack_b32_f16 v14, v31, v48
	v_add_nc_u32_e32 v15, 0x800, v105
	v_pack_b32_f16 v5, v5, v9
	v_add_nc_u32_e32 v9, 0xe00, v105
	v_fmac_f16_e32 v45, 0x34f2, v16
	v_fmac_f16_e32 v47, 0x34f2, v16
	v_pack_b32_f16 v1, v1, v37
	v_pack_b32_f16 v16, v36, v49
	v_add_nc_u32_e32 v18, 0x1400, v105
	v_pack_b32_f16 v19, v30, v41
	ds_write2_b32 v13, v11, v10 offset0:69 offset1:134
	ds_write2_b32 v15, v12, v14 offset0:138 offset1:203
	;; [unrolled: 1-line block ×4, first 2 shown]
	v_pack_b32_f16 v1, v20, v50
	v_pack_b32_f16 v4, v43, v51
	v_pack_b32_f16 v5, v38, v53
	v_pack_b32_f16 v2, v2, v8
	v_pack_b32_f16 v8, v39, v67
	ds_write2_b32 v105, v19, v1 offset0:65 offset1:130
	ds_write_b32 v120, v4 offset:1300
	ds_write_b32 v120, v5 offset:2600
	;; [unrolled: 1-line block ×4, first 2 shown]
	v_pack_b32_f16 v1, v21, v24
	v_pack_b32_f16 v2, v52, v46
	;; [unrolled: 1-line block ×5, first 2 shown]
	ds_write_b32 v105, v1 offset:780
	ds_write_b32 v119, v2 offset:1300
	;; [unrolled: 1-line block ×5, first 2 shown]
	v_pack_b32_f16 v1, v23, v17
	v_pack_b32_f16 v2, v40, v45
	;; [unrolled: 1-line block ×5, first 2 shown]
	ds_write_b32 v105, v1 offset:1040
	ds_write_b32 v118, v2 offset:1300
	ds_write_b32 v118, v3 offset:2600
	ds_write_b32 v118, v0 offset:3900
	ds_write_b32 v118, v4 offset:5200
	s_waitcnt lgkmcnt(0)
	s_barrier
	buffer_gl0_inv
	ds_read2_b32 v[0:1], v89 offset1:125
	v_mad_u64_u32 v[6:7], null, s10, v62, 0
	s_waitcnt lgkmcnt(0)
	v_lshrrev_b32_e32 v4, 16, v0
	v_lshrrev_b32_e32 v13, 16, v1
	v_mul_f16_sdwa v2, v103, v4 dst_sel:DWORD dst_unused:UNUSED_PAD src0_sel:WORD_1 src1_sel:DWORD
	v_mul_f16_sdwa v14, v102, v13 dst_sel:DWORD dst_unused:UNUSED_PAD src0_sel:WORD_1 src1_sel:DWORD
	v_fmac_f16_e32 v2, v103, v0
	v_mul_f16_sdwa v0, v103, v0 dst_sel:DWORD dst_unused:UNUSED_PAD src0_sel:WORD_1 src1_sel:DWORD
	v_fmac_f16_e32 v14, v102, v1
	v_cvt_f32_f16_e32 v2, v2
	v_fma_f16 v0, v103, v4, -v0
	v_cvt_f64_f32_e32 v[2:3], v2
	v_cvt_f32_f16_e32 v0, v0
	v_cvt_f64_f32_e32 v[4:5], v0
	v_mul_f64 v[2:3], v[2:3], s[4:5]
	v_mul_f64 v[4:5], v[4:5], s[4:5]
	v_and_or_b32 v0, 0x1ff, v3, v2
	v_lshrrev_b32_e32 v2, 8, v3
	v_bfe_u32 v8, v3, 20, 11
	v_cmp_ne_u32_e64 s0, 0, v0
	v_and_or_b32 v4, 0x1ff, v5, v4
	v_lshrrev_b32_e32 v11, 8, v5
	v_bfe_u32 v12, v5, 20, 11
	v_add_nc_u32_e32 v15, 0xfffffc10, v8
	v_cndmask_b32_e64 v0, 0, 1, s0
	v_cmp_ne_u32_e64 s0, 0, v4
	v_lshrrev_b32_e32 v5, 16, v5
	v_cmp_eq_u32_e64 s2, 0x40f, v15
	v_and_or_b32 v2, 0xffe, v2, v0
	v_sub_nc_u32_e32 v0, 0x3f1, v8
	v_cndmask_b32_e64 v4, 0, 1, s0
	v_or_b32_e32 v9, 0x1000, v2
	v_med3_i32 v0, v0, 0, 13
	v_and_or_b32 v4, 0xffe, v11, v4
	v_sub_nc_u32_e32 v11, 0x3f1, v12
	v_add_nc_u32_e32 v12, 0xfffffc10, v12
	v_lshrrev_b32_e32 v10, v0, v9
	v_or_b32_e32 v16, 0x1000, v4
	v_med3_i32 v8, v11, 0, 13
	v_lshlrev_b32_e32 v0, v0, v10
	v_lshrrev_b32_e32 v11, v8, v16
	v_cmp_ne_u32_e64 s0, v0, v9
	v_lshl_or_b32 v9, v15, 12, v2
	v_lshlrev_b32_e32 v17, v8, v11
	v_cndmask_b32_e64 v0, 0, 1, s0
	v_cmp_gt_i32_e64 s0, 1, v15
	v_or_b32_e32 v0, v10, v0
	v_cvt_f32_f16_e32 v10, v14
	v_cndmask_b32_e64 v14, v9, v0, s0
	v_mov_b32_e32 v0, v7
	v_cmp_ne_u32_e64 s0, v17, v16
	v_cvt_f64_f32_e32 v[7:8], v10
	v_and_b32_e32 v18, 7, v14
	v_mad_u64_u32 v[9:10], null, s11, v62, v[0:1]
	v_cndmask_b32_e64 v0, 0, 1, s0
	v_lshrrev_b32_e32 v10, 2, v14
	v_cmp_lt_i32_e64 s0, 5, v18
	v_cmp_eq_u32_e64 s1, 3, v18
	v_mul_f16_sdwa v1, v102, v1 dst_sel:DWORD dst_unused:UNUSED_PAD src0_sel:WORD_1 src1_sel:DWORD
	v_or_b32_e32 v0, v11, v0
	v_lshl_or_b32 v11, v12, 12, v4
	s_or_b32 s0, s1, s0
	v_fma_f16 v1, v102, v13, -v1
	v_add_co_ci_u32_e64 v10, s0, 0, v10, s0
	v_cmp_gt_i32_e64 s0, 1, v12
	v_cndmask_b32_e64 v13, v11, v0, s0
	v_cmp_ne_u32_e64 s0, 0, v2
	v_cvt_f32_f16_e32 v11, v1
	v_mul_f64 v[0:1], v[7:8], s[4:5]
	v_mov_b32_e32 v7, v9
	v_and_b32_e32 v8, 7, v13
	v_cndmask_b32_e64 v2, 0, 1, s0
	v_cmp_gt_i32_e64 s0, 31, v15
	v_lshrrev_b32_e32 v15, 16, v3
	v_cmp_eq_u32_e64 s1, 3, v8
	v_lshl_or_b32 v2, v2, 9, 0x7c00
	v_cndmask_b32_e64 v14, 0x7c00, v10, s0
	v_cvt_f64_f32_e32 v[10:11], v11
	v_cmp_lt_i32_e64 s0, 5, v8
	v_lshrrev_b32_e32 v8, 2, v13
	v_cndmask_b32_e64 v14, v14, v2, s2
	v_add_nc_u32_e32 v2, 0x200, v89
	s_or_b32 s0, s1, s0
	s_mul_i32 s2, s8, 0x7d
	v_add_co_ci_u32_e64 v8, s0, 0, v8, s0
	v_cmp_ne_u32_e64 s0, 0, v4
	ds_read2_b32 v[3:4], v2 offset0:122 offset1:247
	v_and_or_b32 v0, 0x1ff, v1, v0
	v_lshrrev_b32_e32 v18, 8, v1
	v_bfe_u32 v19, v1, 20, 11
	v_cndmask_b32_e64 v9, 0, 1, s0
	v_cmp_gt_i32_e64 s0, 31, v12
	v_lshl_or_b32 v16, v9, 9, 0x7c00
	v_cndmask_b32_e64 v13, 0x7c00, v8, s0
	v_mul_f64 v[10:11], v[10:11], s[4:5]
	v_cmp_ne_u32_e64 s0, 0, v0
	v_mad_u64_u32 v[8:9], null, s8, v100, 0
	v_cndmask_b32_e64 v17, 0, 1, s0
	v_cmp_eq_u32_e64 s0, 0x40f, v12
	v_mov_b32_e32 v0, v9
	v_and_or_b32 v17, 0xffe, v18, v17
	v_sub_nc_u32_e32 v9, 0x3f1, v19
	v_cndmask_b32_e64 v16, v13, v16, s0
	v_add_nc_u32_e32 v19, 0xfffffc10, v19
	v_mad_u64_u32 v[12:13], null, s9, v100, v[0:1]
	v_and_or_b32 v0, 0x8000, v15, v14
	s_waitcnt lgkmcnt(0)
	v_lshrrev_b32_e32 v14, 16, v3
	v_or_b32_e32 v13, 0x1000, v17
	v_med3_i32 v15, v9, 0, 13
	v_and_or_b32 v5, 0x8000, v5, v16
	v_and_b32_e32 v0, 0xffff, v0
	v_mul_f16_sdwa v16, v101, v14 dst_sel:DWORD dst_unused:UNUSED_PAD src0_sel:WORD_1 src1_sel:DWORD
	v_and_or_b32 v10, 0x1ff, v11, v10
	v_lshrrev_b32_e32 v18, v15, v13
	v_mov_b32_e32 v9, v12
	v_lshl_or_b32 v0, v5, 16, v0
	v_fmac_f16_e32 v16, v101, v3
	v_lshlrev_b64 v[5:6], 2, v[6:7]
	v_lshlrev_b32_e32 v7, v15, v18
	v_cmp_ne_u32_e64 s0, 0, v10
	v_lshrrev_b32_e32 v15, 8, v11
	v_cvt_f32_f16_e32 v12, v16
	v_bfe_u32 v16, v11, 20, 11
	v_mul_f16_sdwa v3, v101, v3 dst_sel:DWORD dst_unused:UNUSED_PAD src0_sel:WORD_1 src1_sel:DWORD
	v_cndmask_b32_e64 v10, 0, 1, s0
	v_cmp_ne_u32_e64 s0, v7, v13
	v_cvt_f64_f32_e32 v[12:13], v12
	v_lshlrev_b64 v[7:8], 2, v[8:9]
	v_lshrrev_b32_e32 v1, 16, v1
	v_and_or_b32 v15, 0xffe, v15, v10
	v_cndmask_b32_e64 v20, 0, 1, s0
	v_sub_nc_u32_e32 v10, 0x3f1, v16
	v_add_co_u32 v5, s0, s6, v5
	v_add_co_ci_u32_e64 v6, s0, s7, v6, s0
	v_or_b32_e32 v9, v18, v20
	v_lshl_or_b32 v18, v19, 12, v17
	v_or_b32_e32 v20, 0x1000, v15
	v_med3_i32 v10, v10, 0, 13
	v_cmp_gt_i32_e64 s0, 1, v19
	v_lshrrev_b32_e32 v11, 16, v11
	v_cndmask_b32_e64 v9, v18, v9, s0
	v_lshrrev_b32_e32 v18, v10, v20
	v_add_co_u32 v5, s0, v5, v7
	v_add_co_ci_u32_e64 v6, s0, v6, v8, s0
	v_lshlrev_b32_e32 v10, v10, v18
	v_and_b32_e32 v21, 7, v9
	v_mul_f64 v[7:8], v[12:13], s[4:5]
	global_store_dword v[5:6], v0, off
	v_fma_f16 v0, v101, v14, -v3
	v_cmp_ne_u32_e64 s1, v10, v20
	v_cmp_lt_i32_e64 s0, 5, v21
	v_lshrrev_b32_e32 v13, 2, v9
	v_add_nc_u32_e32 v12, 0xfffffc10, v16
	v_cvt_f32_f16_e32 v0, v0
	v_cndmask_b32_e64 v3, 0, 1, s1
	v_cmp_eq_u32_e64 s1, 3, v21
	v_lshl_or_b32 v14, v12, 12, v15
	v_cvt_f64_f32_e32 v[9:10], v0
	v_or_b32_e32 v3, v18, v3
	s_or_b32 s0, s1, s0
	v_add_co_ci_u32_e64 v0, s0, 0, v13, s0
	v_cmp_ne_u32_e64 s0, 0, v17
	v_and_or_b32 v7, 0x1ff, v8, v7
	v_cndmask_b32_e64 v13, 0, 1, s0
	v_cmp_gt_i32_e64 s0, 1, v12
	v_lshrrev_b32_e32 v16, 8, v8
	v_bfe_u32 v17, v8, 20, 11
	v_lshl_or_b32 v13, v13, 9, 0x7c00
	v_cndmask_b32_e64 v3, v14, v3, s0
	v_cmp_gt_i32_e64 s0, 31, v19
	v_and_b32_e32 v14, 7, v3
	v_cndmask_b32_e64 v0, 0x7c00, v0, s0
	v_cmp_ne_u32_e64 s0, 0, v7
	v_mul_f64 v[9:10], v[9:10], s[4:5]
	v_lshrrev_b32_e32 v3, 2, v3
	v_cmp_eq_u32_e64 s1, 3, v14
	v_cndmask_b32_e64 v7, 0, 1, s0
	v_cmp_eq_u32_e64 s0, 0x40f, v19
	v_lshrrev_b32_e32 v19, 16, v4
	v_and_or_b32 v7, 0xffe, v16, v7
	v_cndmask_b32_e64 v0, v0, v13, s0
	v_cmp_lt_i32_e64 s0, 5, v14
	v_sub_nc_u32_e32 v13, 0x3f1, v17
	v_or_b32_e32 v14, 0x1000, v7
	v_and_or_b32 v18, 0x8000, v1, v0
	s_or_b32 s0, s1, s0
	v_med3_i32 v13, v13, 0, 13
	v_add_co_ci_u32_e64 v3, s0, 0, v3, s0
	v_cmp_ne_u32_e64 s0, 0, v15
	v_mul_f16_sdwa v1, v99, v19 dst_sel:DWORD dst_unused:UNUSED_PAD src0_sel:WORD_1 src1_sel:DWORD
	v_lshrrev_b32_e32 v16, v13, v14
	v_and_or_b32 v9, 0x1ff, v10, v9
	s_mul_hi_u32 s1, s8, 0x7d
	v_cndmask_b32_e64 v15, 0, 1, s0
	v_cmp_gt_i32_e64 s0, 31, v12
	v_lshlrev_b32_e32 v13, v13, v16
	v_fmac_f16_e32 v1, v99, v4
	v_lshl_or_b32 v15, v15, 9, 0x7c00
	v_cndmask_b32_e64 v3, 0x7c00, v3, s0
	v_cmp_eq_u32_e64 s0, 0x40f, v12
	v_cvt_f32_f16_e32 v1, v1
	v_cndmask_b32_e64 v3, v3, v15, s0
	v_cmp_ne_u32_e64 s0, v13, v14
	v_add_nc_u32_e32 v13, 0xfffffc10, v17
	v_lshrrev_b32_e32 v14, 8, v10
	v_bfe_u32 v15, v10, 20, 11
	v_and_or_b32 v20, 0x8000, v11, v3
	v_cndmask_b32_e64 v0, 0, 1, s0
	v_cmp_ne_u32_e64 s0, 0, v9
	v_lshl_or_b32 v12, v13, 12, v7
	v_mul_f16_sdwa v3, v99, v4 dst_sel:DWORD dst_unused:UNUSED_PAD src0_sel:WORD_1 src1_sel:DWORD
	v_lshrrev_b32_e32 v10, 16, v10
	v_or_b32_e32 v0, v16, v0
	v_cndmask_b32_e64 v9, 0, 1, s0
	v_cmp_gt_i32_e64 s0, 1, v13
	v_fma_f16 v3, v99, v19, -v3
	v_and_or_b32 v9, 0xffe, v14, v9
	v_sub_nc_u32_e32 v14, 0x3f1, v15
	v_cndmask_b32_e64 v12, v12, v0, s0
	v_cvt_f64_f32_e32 v[0:1], v1
	s_mul_i32 s0, s9, 0x7d
	v_or_b32_e32 v17, 0x1000, v9
	v_med3_i32 v14, v14, 0, 13
	v_and_b32_e32 v16, 7, v12
	s_add_i32 s3, s1, s0
	v_lshrrev_b32_e32 v11, 2, v12
	v_cvt_f32_f16_e32 v3, v3
	v_lshrrev_b32_e32 v4, v14, v17
	v_cmp_lt_i32_e64 s0, 5, v16
	v_cmp_eq_u32_e64 s1, 3, v16
	v_add_nc_u32_e32 v15, 0xfffffc10, v15
	s_lshl_b64 s[6:7], s[2:3], 2
	v_lshlrev_b32_e32 v12, v14, v4
	v_and_b32_e32 v16, 0xffff, v18
	s_or_b32 s0, s1, s0
	v_add_co_ci_u32_e64 v14, s0, 0, v11, s0
	v_cmp_ne_u32_e64 s0, v12, v17
	v_cvt_f64_f32_e32 v[11:12], v3
	v_lshl_or_b32 v16, v20, 16, v16
	v_mul_f64 v[0:1], v[0:1], s[4:5]
	v_cndmask_b32_e64 v17, 0, 1, s0
	v_cmp_ne_u32_e64 s0, 0, v7
	v_lshl_or_b32 v7, v15, 12, v9
	v_or_b32_e32 v4, v4, v17
	v_cndmask_b32_e64 v3, 0, 1, s0
	v_cmp_gt_i32_e64 s0, 31, v13
	v_lshl_or_b32 v17, v3, 9, 0x7c00
	v_cndmask_b32_e64 v14, 0x7c00, v14, s0
	v_cmp_gt_i32_e64 s0, 1, v15
	v_add_nc_u32_e32 v3, 0x600, v89
	v_cndmask_b32_e64 v4, v7, v4, s0
	v_cmp_eq_u32_e64 s0, 0x40f, v13
	v_and_or_b32 v0, 0x1ff, v1, v0
	v_mul_f64 v[11:12], v[11:12], s[4:5]
	v_cndmask_b32_e64 v13, v14, v17, s0
	v_lshrrev_b32_e32 v14, 16, v8
	ds_read2_b32 v[7:8], v3 offset0:116 offset1:241
	v_and_b32_e32 v17, 7, v4
	v_cmp_ne_u32_e64 s2, 0, v0
	v_lshrrev_b32_e32 v4, 2, v4
	v_and_or_b32 v18, 0x8000, v14, v13
	v_lshrrev_b32_e32 v13, 8, v1
	v_cmp_lt_i32_e64 s0, 5, v17
	v_cmp_eq_u32_e64 s1, 3, v17
	v_cndmask_b32_e64 v0, 0, 1, s2
	v_bfe_u32 v17, v1, 20, 11
	v_and_b32_e32 v18, 0xffff, v18
	v_lshrrev_b32_e32 v1, 16, v1
	s_or_b32 s0, s1, s0
	v_and_or_b32 v0, 0xffe, v13, v0
	v_add_co_ci_u32_e64 v4, s0, 0, v4, s0
	v_sub_nc_u32_e32 v13, 0x3f1, v17
	v_cmp_ne_u32_e64 s0, 0, v9
	v_or_b32_e32 v20, 0x1000, v0
	v_and_or_b32 v11, 0x1ff, v12, v11
	s_waitcnt lgkmcnt(0)
	v_lshrrev_b32_e32 v19, 16, v7
	v_med3_i32 v13, v13, 0, 13
	v_cndmask_b32_e64 v9, 0, 1, s0
	v_cmp_gt_i32_e64 s0, 31, v15
	v_bfe_u32 v22, v12, 20, 11
	v_mul_f16_sdwa v14, v98, v19 dst_sel:DWORD dst_unused:UNUSED_PAD src0_sel:WORD_1 src1_sel:DWORD
	v_lshrrev_b32_e32 v21, v13, v20
	v_lshl_or_b32 v9, v9, 9, 0x7c00
	v_cndmask_b32_e64 v4, 0x7c00, v4, s0
	v_cmp_eq_u32_e64 s0, 0x40f, v15
	v_fmac_f16_e32 v14, v98, v7
	v_lshrrev_b32_e32 v15, 8, v12
	v_add_nc_u32_e32 v17, 0xfffffc10, v17
	v_lshrrev_b32_e32 v12, 16, v12
	v_cndmask_b32_e64 v4, v4, v9, s0
	v_lshlrev_b32_e32 v9, v13, v21
	v_cmp_ne_u32_e64 s0, 0, v11
	v_cvt_f32_f16_e32 v13, v14
	v_and_or_b32 v10, 0x8000, v10, v4
	v_cndmask_b32_e64 v11, 0, 1, s0
	v_cmp_ne_u32_e64 s0, v9, v20
	v_cvt_f64_f32_e32 v[13:14], v13
	v_lshl_or_b32 v20, v17, 12, v0
	v_lshl_or_b32 v18, v10, 16, v18
	v_and_or_b32 v11, 0xffe, v15, v11
	v_cndmask_b32_e64 v9, 0, 1, s0
	v_sub_nc_u32_e32 v15, 0x3f1, v22
	v_cmp_gt_i32_e64 s0, 1, v17
	v_or_b32_e32 v9, v21, v9
	v_or_b32_e32 v21, 0x1000, v11
	v_med3_i32 v15, v15, 0, 13
	v_cndmask_b32_e64 v20, v20, v9, s0
	v_add_co_u32 v4, s0, v5, s6
	v_lshrrev_b32_e32 v23, v15, v21
	v_add_co_ci_u32_e64 v5, s0, s7, v6, s0
	v_and_b32_e32 v24, 7, v20
	v_add_co_u32 v6, s0, v4, s6
	v_lshlrev_b32_e32 v15, v15, v23
	v_mul_f64 v[9:10], v[13:14], s[4:5]
	v_mul_f16_sdwa v13, v98, v7 dst_sel:DWORD dst_unused:UNUSED_PAD src0_sel:WORD_1 src1_sel:DWORD
	v_add_co_ci_u32_e64 v7, s0, s7, v5, s0
	v_cmp_ne_u32_e64 s1, v15, v21
	v_cmp_lt_i32_e64 s0, 5, v24
	v_fma_f16 v13, v98, v19, -v13
	v_lshrrev_b32_e32 v19, 2, v20
	v_add_nc_u32_e32 v15, 0xfffffc10, v22
	v_cndmask_b32_e64 v14, 0, 1, s1
	v_cmp_eq_u32_e64 s1, 3, v24
	v_cvt_f32_f16_e32 v13, v13
	global_store_dword v[4:5], v16, off
	global_store_dword v[6:7], v18, off
	v_lshl_or_b32 v21, v15, 12, v11
	v_or_b32_e32 v20, v23, v14
	s_or_b32 s0, s1, s0
	v_cvt_f64_f32_e32 v[13:14], v13
	v_add_co_ci_u32_e64 v19, s0, 0, v19, s0
	v_cmp_ne_u32_e64 s0, 0, v0
	v_and_or_b32 v9, 0x1ff, v10, v9
	v_lshrrev_b32_e32 v22, 8, v10
	v_cndmask_b32_e64 v0, 0, 1, s0
	v_cmp_gt_i32_e64 s0, 1, v15
	v_bfe_u32 v23, v10, 20, 11
	v_lshrrev_b32_e32 v10, 16, v10
	v_lshl_or_b32 v0, v0, 9, 0x7c00
	v_cndmask_b32_e64 v20, v21, v20, s0
	v_cmp_gt_i32_e64 s0, 31, v17
	v_and_b32_e32 v21, 7, v20
	v_cndmask_b32_e64 v19, 0x7c00, v19, s0
	v_cmp_ne_u32_e64 s0, 0, v9
	v_mul_f64 v[13:14], v[13:14], s[4:5]
	v_cmp_eq_u32_e64 s1, 3, v21
	v_cndmask_b32_e64 v9, 0, 1, s0
	v_cmp_eq_u32_e64 s0, 0x40f, v17
	v_sub_nc_u32_e32 v17, 0x3f1, v23
	v_and_or_b32 v9, 0xffe, v22, v9
	v_cndmask_b32_e64 v0, v19, v0, s0
	v_cmp_lt_i32_e64 s0, 5, v21
	v_lshrrev_b32_e32 v19, 2, v20
	v_med3_i32 v17, v17, 0, 13
	v_or_b32_e32 v20, 0x1000, v9
	v_lshrrev_b32_e32 v21, 16, v8
	s_or_b32 s0, s1, s0
	v_and_or_b32 v25, 0x8000, v1, v0
	v_add_co_ci_u32_e64 v19, s0, 0, v19, s0
	v_cmp_ne_u32_e64 s0, 0, v11
	v_lshrrev_b32_e32 v22, v17, v20
	v_mul_f16_sdwa v24, v97, v21 dst_sel:DWORD dst_unused:UNUSED_PAD src0_sel:WORD_1 src1_sel:DWORD
	v_and_or_b32 v1, 0x1ff, v14, v13
	v_cndmask_b32_e64 v11, 0, 1, s0
	v_cmp_gt_i32_e64 s0, 31, v15
	v_lshlrev_b32_e32 v0, v17, v22
	v_fmac_f16_e32 v24, v97, v8
	v_lshl_or_b32 v11, v11, 9, 0x7c00
	v_cndmask_b32_e64 v19, 0x7c00, v19, s0
	v_cmp_eq_u32_e64 s0, 0x40f, v15
	v_add_nc_u32_e32 v15, 0xfffffc10, v23
	v_cndmask_b32_e64 v11, v19, v11, s0
	v_cmp_ne_u32_e64 s0, v0, v20
	v_cvt_f32_f16_e32 v0, v24
	v_lshrrev_b32_e32 v19, 8, v14
	v_bfe_u32 v20, v14, 20, 11
	v_and_or_b32 v11, 0x8000, v12, v11
	v_cndmask_b32_e64 v13, 0, 1, s0
	v_cmp_ne_u32_e64 s0, 0, v1
	v_cvt_f64_f32_e32 v[0:1], v0
	v_lshrrev_b32_e32 v14, 16, v14
	v_or_b32_e32 v12, v22, v13
	v_cndmask_b32_e64 v17, 0, 1, s0
	v_lshl_or_b32 v13, v15, 12, v9
	v_cmp_gt_i32_e64 s0, 1, v15
	v_and_b32_e32 v22, 0xffff, v25
	v_and_or_b32 v17, 0xffe, v19, v17
	v_sub_nc_u32_e32 v19, 0x3f1, v20
	v_cndmask_b32_e64 v12, v13, v12, s0
	v_lshl_or_b32 v16, v11, 16, v22
	v_add_co_u32 v5, s0, v6, s6
	v_or_b32_e32 v13, 0x1000, v17
	v_med3_i32 v19, v19, 0, 13
	v_and_b32_e32 v4, 7, v12
	v_add_co_ci_u32_e64 v6, s0, s7, v7, s0
	v_mul_f16_sdwa v7, v97, v8 dst_sel:DWORD dst_unused:UNUSED_PAD src0_sel:WORD_1 src1_sel:DWORD
	v_lshrrev_b32_e32 v11, v19, v13
	v_mul_f64 v[0:1], v[0:1], s[4:5]
	v_cmp_lt_i32_e64 s0, 5, v4
	v_cmp_eq_u32_e64 s1, 3, v4
	v_fma_f16 v4, v97, v21, -v7
	v_lshlrev_b32_e32 v8, v19, v11
	v_lshrrev_b32_e32 v7, 2, v12
	global_store_dword v[5:6], v16, off
	s_or_b32 s0, s1, s0
	v_cvt_f32_f16_e32 v12, v4
	v_cmp_ne_u32_e64 s2, v8, v13
	v_add_co_ci_u32_e64 v18, s0, 0, v7, s0
	v_add_nc_u32_e32 v13, 0xfffffc10, v20
	v_cmp_ne_u32_e64 s0, 0, v9
	v_cndmask_b32_e64 v8, 0, 1, s2
	v_add_nc_u32_e32 v4, 0xa00, v89
	v_lshl_or_b32 v20, v13, 12, v17
	v_cndmask_b32_e64 v9, 0, 1, s0
	v_or_b32_e32 v19, v11, v8
	v_cvt_f64_f32_e32 v[7:8], v12
	v_cmp_gt_i32_e64 s0, 1, v13
	ds_read2_b32 v[11:12], v4 offset0:110 offset1:235
	v_and_or_b32 v0, 0x1ff, v1, v0
	v_lshl_or_b32 v9, v9, 9, 0x7c00
	v_lshrrev_b32_e32 v21, 8, v1
	v_cndmask_b32_e64 v19, v20, v19, s0
	v_cmp_gt_i32_e64 s0, 31, v15
	v_bfe_u32 v22, v1, 20, 11
	v_lshrrev_b32_e32 v1, 16, v1
	v_and_b32_e32 v20, 7, v19
	v_cndmask_b32_e64 v18, 0x7c00, v18, s0
	v_cmp_ne_u32_e64 s0, 0, v0
	v_lshrrev_b32_e32 v19, 2, v19
	v_cmp_eq_u32_e64 s1, 3, v20
	v_cndmask_b32_e64 v0, 0, 1, s0
	v_cmp_eq_u32_e64 s0, 0x40f, v15
	v_sub_nc_u32_e32 v15, 0x3f1, v22
	v_mul_f64 v[7:8], v[7:8], s[4:5]
	v_and_or_b32 v0, 0xffe, v21, v0
	v_cndmask_b32_e64 v9, v18, v9, s0
	v_cmp_lt_i32_e64 s0, 5, v20
	s_waitcnt lgkmcnt(0)
	v_lshrrev_b32_e32 v18, 16, v11
	v_med3_i32 v15, v15, 0, 13
	v_or_b32_e32 v20, 0x1000, v0
	v_and_or_b32 v24, 0x8000, v10, v9
	s_or_b32 s0, s1, s0
	v_mul_f16_sdwa v21, v96, v18 dst_sel:DWORD dst_unused:UNUSED_PAD src0_sel:WORD_1 src1_sel:DWORD
	v_add_co_ci_u32_e64 v19, s0, 0, v19, s0
	v_cmp_ne_u32_e64 s0, 0, v17
	v_lshrrev_b32_e32 v23, v15, v20
	v_fmac_f16_e32 v21, v96, v11
	v_mul_f16_sdwa v11, v96, v11 dst_sel:DWORD dst_unused:UNUSED_PAD src0_sel:WORD_1 src1_sel:DWORD
	v_cndmask_b32_e64 v17, 0, 1, s0
	v_cmp_gt_i32_e64 s0, 31, v13
	v_lshlrev_b32_e32 v15, v15, v23
	v_cvt_f32_f16_e32 v9, v21
	v_and_b32_e32 v21, 0xffff, v24
	v_lshl_or_b32 v17, v17, 9, 0x7c00
	v_cndmask_b32_e64 v19, 0x7c00, v19, s0
	v_cmp_eq_u32_e64 s0, 0x40f, v13
	v_and_or_b32 v7, 0x1ff, v8, v7
	v_cvt_f64_f32_e32 v[9:10], v9
	v_fma_f16 v11, v96, v18, -v11
	v_cndmask_b32_e64 v13, v19, v17, s0
	v_cmp_ne_u32_e64 s0, v15, v20
	v_add_nc_u32_e32 v17, 0xfffffc10, v22
	v_lshrrev_b32_e32 v19, 8, v8
	v_bfe_u32 v20, v8, 20, 11
	v_and_or_b32 v13, 0x8000, v14, v13
	v_cndmask_b32_e64 v15, 0, 1, s0
	v_cmp_ne_u32_e64 s0, 0, v7
	v_lshrrev_b32_e32 v8, 16, v8
	v_add_nc_u32_e32 v18, 0xfffffc10, v20
	v_lshl_or_b32 v16, v13, 16, v21
	v_or_b32_e32 v14, v23, v15
	v_cndmask_b32_e64 v7, 0, 1, s0
	v_lshl_or_b32 v15, v17, 12, v0
	v_cmp_gt_i32_e64 s0, 1, v17
	v_and_or_b32 v7, 0xffe, v19, v7
	v_sub_nc_u32_e32 v19, 0x3f1, v20
	v_cndmask_b32_e64 v15, v15, v14, s0
	v_mul_f64 v[9:10], v[9:10], s[4:5]
	v_add_co_u32 v13, s0, v5, s6
	v_or_b32_e32 v22, 0x1000, v7
	v_med3_i32 v19, v19, 0, 13
	v_and_b32_e32 v21, 7, v15
	v_add_co_ci_u32_e64 v14, s0, s7, v6, s0
	v_cvt_f32_f16_e32 v6, v11
	v_lshrrev_b32_e32 v23, v19, v22
	v_cmp_lt_i32_e64 s0, 5, v21
	v_cmp_eq_u32_e64 s1, 3, v21
	v_lshrrev_b32_e32 v11, 2, v15
	v_lshrrev_b32_e32 v21, 16, v12
	v_lshlrev_b32_e32 v5, v19, v23
	v_lshl_or_b32 v19, v18, 12, v7
	s_or_b32 s0, s1, s0
	global_store_dword v[13:14], v16, off
	v_add_co_ci_u32_e64 v11, s0, 0, v11, s0
	v_cmp_ne_u32_e64 s2, v5, v22
	v_cmp_ne_u32_e64 s0, 0, v0
	v_cvt_f64_f32_e32 v[5:6], v6
	v_and_or_b32 v9, 0x1ff, v10, v9
	v_bfe_u32 v20, v10, 20, 11
	v_cndmask_b32_e64 v15, 0, 1, s2
	v_cndmask_b32_e64 v0, 0, 1, s0
	v_cmp_gt_i32_e64 s0, 31, v17
	v_or_b32_e32 v15, v23, v15
	v_lshl_or_b32 v0, v0, 9, 0x7c00
	v_cndmask_b32_e64 v11, 0x7c00, v11, s0
	v_cmp_gt_i32_e64 s0, 1, v18
	v_cndmask_b32_e64 v15, v19, v15, s0
	v_cmp_ne_u32_e64 s0, 0, v9
	v_lshrrev_b32_e32 v19, 8, v10
	v_lshrrev_b32_e32 v10, 16, v10
	v_cndmask_b32_e64 v9, 0, 1, s0
	v_cmp_eq_u32_e64 s0, 0x40f, v17
	v_mul_f64 v[5:6], v[5:6], s[4:5]
	v_sub_nc_u32_e32 v17, 0x3f1, v20
	v_add_nc_u32_e32 v20, 0xfffffc10, v20
	v_and_or_b32 v9, 0xffe, v19, v9
	v_cndmask_b32_e64 v0, v11, v0, s0
	v_and_b32_e32 v11, 7, v15
	v_med3_i32 v17, v17, 0, 13
	v_or_b32_e32 v19, 0x1000, v9
	v_cmp_lt_i32_e64 s0, 5, v11
	v_cmp_eq_u32_e64 s1, 3, v11
	v_and_or_b32 v11, 0x8000, v1, v0
	v_lshrrev_b32_e32 v0, 2, v15
	v_lshrrev_b32_e32 v15, v17, v19
	v_mul_f16_sdwa v1, v95, v21 dst_sel:DWORD dst_unused:UNUSED_PAD src0_sel:WORD_1 src1_sel:DWORD
	s_or_b32 s0, s1, s0
	v_add_co_ci_u32_e64 v0, s0, 0, v0, s0
	v_cmp_ne_u32_e64 s0, 0, v7
	v_lshlrev_b32_e32 v17, v17, v15
	v_fmac_f16_e32 v1, v95, v12
	v_and_or_b32 v5, 0x1ff, v6, v5
	v_bfe_u32 v23, v6, 20, 11
	v_cndmask_b32_e64 v7, 0, 1, s0
	v_cmp_gt_i32_e64 s0, 31, v18
	v_mul_f16_sdwa v12, v95, v12 dst_sel:DWORD dst_unused:UNUSED_PAD src0_sel:WORD_1 src1_sel:DWORD
	v_lshl_or_b32 v7, v7, 9, 0x7c00
	v_cndmask_b32_e64 v22, 0x7c00, v0, s0
	v_cmp_ne_u32_e64 s0, v17, v19
	v_cvt_f32_f16_e32 v0, v1
	v_lshrrev_b32_e32 v19, 8, v6
	v_cndmask_b32_e64 v17, 0, 1, s0
	v_cmp_ne_u32_e64 s0, 0, v5
	v_cvt_f64_f32_e32 v[0:1], v0
	v_or_b32_e32 v15, v15, v17
	v_cndmask_b32_e64 v5, 0, 1, s0
	v_cmp_eq_u32_e64 s0, 0x40f, v18
	v_lshl_or_b32 v17, v20, 12, v9
	v_and_or_b32 v18, 0xffe, v19, v5
	v_sub_nc_u32_e32 v5, 0x3f1, v23
	v_cndmask_b32_e64 v7, v22, v7, s0
	v_cmp_gt_i32_e64 s0, 1, v20
	v_or_b32_e32 v19, 0x1000, v18
	v_med3_i32 v5, v5, 0, 13
	v_and_or_b32 v7, 0x8000, v8, v7
	v_cndmask_b32_e64 v15, v17, v15, s0
	v_and_b32_e32 v8, 0xffff, v11
	v_lshrrev_b32_e32 v11, v5, v19
	v_and_b32_e32 v16, 7, v15
	v_mul_f64 v[0:1], v[0:1], s[4:5]
	v_lshl_or_b32 v22, v7, 16, v8
	v_lshlrev_b32_e32 v5, v5, v11
	v_fma_f16 v7, v95, v21, -v12
	v_cmp_lt_i32_e64 s0, 5, v16
	v_cmp_eq_u32_e64 s1, 3, v16
	v_lshrrev_b32_e32 v8, 2, v15
	v_cmp_ne_u32_e64 s2, v5, v19
	v_cvt_f32_f16_e32 v7, v7
	v_add_nc_u32_e32 v15, 0xfffffc10, v23
	s_or_b32 s0, s1, s0
	v_add_co_ci_u32_e64 v16, s0, 0, v8, s0
	v_cndmask_b32_e64 v5, 0, 1, s2
	v_cmp_ne_u32_e64 s0, 0, v9
	v_cvt_f64_f32_e32 v[7:8], v7
	v_lshl_or_b32 v12, v15, 12, v18
	v_or_b32_e32 v11, v11, v5
	v_cndmask_b32_e64 v9, 0, 1, s0
	v_cmp_gt_i32_e64 s0, 1, v15
	v_add_nc_u32_e32 v5, 0xe00, v89
	v_and_or_b32 v0, 0x1ff, v1, v0
	v_lshrrev_b32_e32 v21, 8, v1
	v_lshl_or_b32 v9, v9, 9, 0x7c00
	v_cndmask_b32_e64 v17, v12, v11, s0
	v_cmp_gt_i32_e64 s0, 31, v20
	ds_read2_b32 v[11:12], v5 offset0:104 offset1:229
	v_bfe_u32 v23, v1, 20, 11
	v_and_b32_e32 v19, 7, v17
	v_cndmask_b32_e64 v16, 0x7c00, v16, s0
	v_cmp_ne_u32_e64 s0, 0, v0
	v_lshrrev_b32_e32 v17, 2, v17
	v_cmp_eq_u32_e64 s1, 3, v19
	v_cndmask_b32_e64 v0, 0, 1, s0
	v_cmp_eq_u32_e64 s0, 0x40f, v20
	v_mul_f64 v[7:8], v[7:8], s[4:5]
	v_and_or_b32 v0, 0xffe, v21, v0
	v_cndmask_b32_e64 v9, v16, v9, s0
	v_cmp_lt_i32_e64 s0, 5, v19
	v_sub_nc_u32_e32 v16, 0x3f1, v23
	v_or_b32_e32 v19, 0x1000, v0
	s_waitcnt lgkmcnt(0)
	v_lshrrev_b32_e32 v20, 16, v11
	s_or_b32 s0, s1, s0
	v_med3_i32 v16, v16, 0, 13
	v_add_co_ci_u32_e64 v17, s0, 0, v17, s0
	v_cmp_ne_u32_e64 s0, 0, v18
	v_mul_f16_sdwa v24, v94, v20 dst_sel:DWORD dst_unused:UNUSED_PAD src0_sel:WORD_1 src1_sel:DWORD
	v_lshrrev_b32_e32 v21, v16, v19
	v_and_or_b32 v9, 0x8000, v10, v9
	v_cndmask_b32_e64 v18, 0, 1, s0
	v_cmp_gt_i32_e64 s0, 31, v15
	v_lshlrev_b32_e32 v10, v16, v21
	v_fmac_f16_e32 v24, v94, v11
	v_lshrrev_b32_e32 v16, 16, v6
	v_lshl_or_b32 v18, v18, 9, 0x7c00
	v_cndmask_b32_e64 v17, 0x7c00, v17, s0
	v_cmp_eq_u32_e64 s0, 0x40f, v15
	v_cvt_f32_f16_e32 v6, v24
	v_mul_f16_sdwa v11, v94, v11 dst_sel:DWORD dst_unused:UNUSED_PAD src0_sel:WORD_1 src1_sel:DWORD
	v_cndmask_b32_e64 v15, v17, v18, s0
	v_and_or_b32 v17, 0x1ff, v8, v7
	v_cmp_ne_u32_e64 s0, v10, v19
	v_cvt_f64_f32_e32 v[6:7], v6
	v_add_nc_u32_e32 v18, 0xfffffc10, v23
	v_lshrrev_b32_e32 v19, 8, v8
	v_bfe_u32 v23, v8, 20, 11
	v_cndmask_b32_e64 v10, 0, 1, s0
	v_cmp_ne_u32_e64 s0, 0, v17
	v_and_or_b32 v15, 0x8000, v16, v15
	v_lshl_or_b32 v16, v18, 12, v0
	v_fma_f16 v11, v94, v20, -v11
	v_or_b32_e32 v10, v21, v10
	v_cndmask_b32_e64 v17, 0, 1, s0
	v_cmp_gt_i32_e64 s0, 1, v18
	v_and_b32_e32 v21, 0xffff, v9
	v_cvt_f32_f16_e32 v11, v11
	v_lshrrev_b32_e32 v8, 16, v8
	v_and_or_b32 v17, 0xffe, v19, v17
	v_sub_nc_u32_e32 v19, 0x3f1, v23
	v_cndmask_b32_e64 v16, v16, v10, s0
	v_add_co_u32 v9, s0, v13, s6
	v_or_b32_e32 v24, 0x1000, v17
	v_med3_i32 v19, v19, 0, 13
	v_add_co_ci_u32_e64 v10, s0, s7, v14, s0
	v_lshl_or_b32 v21, v15, 16, v21
	v_and_b32_e32 v15, 7, v16
	v_lshrrev_b32_e32 v25, v19, v24
	v_mul_f64 v[6:7], v[6:7], s[4:5]
	v_add_co_u32 v13, s0, v9, s6
	v_add_co_ci_u32_e64 v14, s0, s7, v10, s0
	v_lshlrev_b32_e32 v19, v19, v25
	v_cmp_lt_i32_e64 s0, 5, v15
	v_cmp_eq_u32_e64 s1, 3, v15
	v_lshrrev_b32_e32 v15, 2, v16
	v_cmp_ne_u32_e64 s2, v19, v24
	v_add_nc_u32_e32 v19, 0xfffffc10, v23
	s_or_b32 s0, s1, s0
	v_add_co_ci_u32_e64 v20, s0, 0, v15, s0
	v_cndmask_b32_e64 v16, 0, 1, s2
	v_cmp_ne_u32_e64 s0, 0, v0
	v_lshl_or_b32 v24, v19, 12, v17
	v_or_b32_e32 v23, v25, v16
	v_cndmask_b32_e64 v0, 0, 1, s0
	v_cmp_gt_i32_e64 s0, 1, v19
	v_cvt_f64_f32_e32 v[15:16], v11
	v_and_or_b32 v6, 0x1ff, v7, v6
	v_bfe_u32 v25, v7, 20, 11
	v_lshl_or_b32 v0, v0, 9, 0x7c00
	v_cndmask_b32_e64 v11, v24, v23, s0
	v_cmp_gt_i32_e64 s0, 31, v18
	v_lshrrev_b32_e32 v24, 8, v7
	v_lshrrev_b32_e32 v7, 16, v7
	v_and_b32_e32 v23, 7, v11
	v_cndmask_b32_e64 v20, 0x7c00, v20, s0
	v_cmp_ne_u32_e64 s0, 0, v6
	v_cmp_eq_u32_e64 s1, 3, v23
	v_cndmask_b32_e64 v6, 0, 1, s0
	v_cmp_eq_u32_e64 s0, 0x40f, v18
	v_and_or_b32 v24, 0xffe, v24, v6
	v_cndmask_b32_e64 v18, v20, v0, s0
	v_cmp_lt_i32_e64 s0, 5, v23
	v_sub_nc_u32_e32 v0, 0x3f1, v25
	v_lshrrev_b32_e32 v6, 2, v11
	v_lshrrev_b32_e32 v23, 16, v12
	;; [unrolled: 1-line block ×3, first 2 shown]
	s_or_b32 s0, s1, s0
	v_med3_i32 v26, v0, 0, 13
	v_mul_f64 v[0:1], v[15:16], s[4:5]
	v_add_co_ci_u32_e64 v6, s0, 0, v6, s0
	v_mul_f16_sdwa v15, v93, v23 dst_sel:DWORD dst_unused:UNUSED_PAD src0_sel:WORD_1 src1_sel:DWORD
	v_cmp_ne_u32_e64 s0, 0, v17
	v_or_b32_e32 v11, 0x1000, v24
	v_and_or_b32 v18, 0x8000, v20, v18
	v_fmac_f16_e32 v15, v93, v12
	v_cndmask_b32_e64 v16, 0, 1, s0
	v_cmp_gt_i32_e64 s0, 31, v19
	v_lshrrev_b32_e32 v17, v26, v11
	v_cvt_f32_f16_e32 v15, v15
	v_lshl_or_b32 v16, v16, 9, 0x7c00
	v_cndmask_b32_e64 v6, 0x7c00, v6, s0
	v_cmp_eq_u32_e64 s0, 0x40f, v19
	v_lshlrev_b32_e32 v20, v26, v17
	v_add_nc_u32_e32 v19, 0xfffffc10, v25
	v_cndmask_b32_e64 v6, v6, v16, s0
	v_cvt_f64_f32_e32 v[15:16], v15
	v_cmp_ne_u32_e64 s0, v20, v11
	v_and_or_b32 v0, 0x1ff, v1, v0
	v_bfe_u32 v20, v1, 20, 11
	v_and_or_b32 v6, 0x8000, v8, v6
	v_and_b32_e32 v8, 0xffff, v18
	v_cndmask_b32_e64 v11, 0, 1, s0
	v_cmp_ne_u32_e64 s0, 0, v0
	v_lshrrev_b32_e32 v18, 8, v1
	v_lshl_or_b32 v6, v6, 16, v8
	v_or_b32_e32 v11, v17, v11
	v_lshl_or_b32 v17, v19, 12, v24
	v_cndmask_b32_e64 v0, 0, 1, s0
	v_cmp_gt_i32_e64 s0, 1, v19
	v_and_or_b32 v0, 0xffe, v18, v0
	v_cndmask_b32_e64 v8, v17, v11, s0
	v_sub_nc_u32_e32 v11, 0x3f1, v20
	v_add_co_u32 v17, s0, v13, s6
	v_mul_f64 v[15:16], v[15:16], s[4:5]
	v_or_b32_e32 v25, 0x1000, v0
	v_med3_i32 v11, v11, 0, 13
	v_add_co_ci_u32_e64 v18, s0, s7, v14, s0
	v_and_b32_e32 v26, 7, v8
	global_store_dword v[9:10], v22, off
	global_store_dword v[13:14], v21, off
	;; [unrolled: 1-line block ×3, first 2 shown]
	v_lshrrev_b32_e32 v13, v11, v25
	v_lshrrev_b32_e32 v8, 2, v8
	v_mul_f16_sdwa v9, v93, v12 dst_sel:DWORD dst_unused:UNUSED_PAD src0_sel:WORD_1 src1_sel:DWORD
	v_cmp_lt_i32_e64 s0, 5, v26
	v_cmp_eq_u32_e64 s1, 3, v26
	v_lshlrev_b32_e32 v10, v11, v13
	v_add_nc_u32_e32 v6, 0x1200, v89
	v_fma_f16 v11, v93, v23, -v9
	v_add_nc_u32_e32 v20, 0xfffffc10, v20
	s_or_b32 s0, s1, s0
	v_add_co_ci_u32_e64 v12, s0, 0, v8, s0
	v_cmp_ne_u32_e64 s0, v10, v25
	ds_read2_b32 v[8:9], v6 offset0:98 offset1:223
	v_and_or_b32 v15, 0x1ff, v16, v15
	v_cvt_f32_f16_e32 v10, v11
	v_lshrrev_b32_e32 v21, 8, v16
	v_cndmask_b32_e64 v14, 0, 1, s0
	v_cmp_gt_i32_e64 s0, 31, v19
	v_bfe_u32 v22, v16, 20, 11
	v_cvt_f64_f32_e32 v[10:11], v10
	v_lshrrev_b32_e32 v16, 16, v16
	v_or_b32_e32 v13, v13, v14
	v_cndmask_b32_e64 v12, 0x7c00, v12, s0
	v_cmp_ne_u32_e64 s0, 0, v15
	v_lshl_or_b32 v14, v20, 12, v0
	v_cndmask_b32_e64 v15, 0, 1, s0
	v_cmp_ne_u32_e64 s0, 0, v24
	v_cndmask_b32_e64 v23, 0, 1, s0
	v_cmp_gt_i32_e64 s0, 1, v20
	v_lshl_or_b32 v23, v23, 9, 0x7c00
	v_cndmask_b32_e64 v13, v14, v13, s0
	v_and_or_b32 v14, 0xffe, v21, v15
	v_sub_nc_u32_e32 v15, 0x3f1, v22
	v_cmp_eq_u32_e64 s0, 0x40f, v19
	s_waitcnt lgkmcnt(0)
	v_lshrrev_b32_e32 v21, 16, v8
	v_and_b32_e32 v24, 7, v13
	v_or_b32_e32 v25, 0x1000, v14
	v_med3_i32 v15, v15, 0, 13
	v_cndmask_b32_e64 v19, v12, v23, s0
	v_lshrrev_b32_e32 v12, 2, v13
	v_cmp_lt_i32_e64 s0, 5, v24
	v_cmp_eq_u32_e64 s1, 3, v24
	v_lshrrev_b32_e32 v23, v15, v25
	v_mul_f16_sdwa v26, v92, v21 dst_sel:DWORD dst_unused:UNUSED_PAD src0_sel:WORD_1 src1_sel:DWORD
	v_mul_f64 v[10:11], v[10:11], s[4:5]
	v_add_nc_u32_e32 v22, 0xfffffc10, v22
	s_or_b32 s0, s1, s0
	v_lshlrev_b32_e32 v15, v15, v23
	v_add_co_ci_u32_e64 v24, s0, 0, v12, s0
	v_cmp_ne_u32_e64 s0, 0, v0
	v_fmac_f16_e32 v26, v92, v8
	v_and_or_b32 v7, 0x8000, v7, v19
	v_mul_f16_sdwa v8, v92, v8 dst_sel:DWORD dst_unused:UNUSED_PAD src0_sel:WORD_1 src1_sel:DWORD
	v_cndmask_b32_e64 v0, 0, 1, s0
	v_cmp_ne_u32_e64 s0, v15, v25
	v_cvt_f32_f16_e32 v13, v26
	v_lshrrev_b32_e32 v25, 16, v1
	v_and_b32_e32 v7, 0xffff, v7
	v_lshl_or_b32 v0, v0, 9, 0x7c00
	v_cndmask_b32_e64 v15, 0, 1, s0
	v_cmp_gt_i32_e64 s0, 31, v20
	v_cvt_f64_f32_e32 v[12:13], v13
	v_fma_f16 v8, v92, v21, -v8
	v_or_b32_e32 v15, v23, v15
	v_cndmask_b32_e64 v24, 0x7c00, v24, s0
	v_cmp_eq_u32_e64 s0, 0x40f, v20
	v_lshl_or_b32 v23, v22, 12, v14
	v_and_or_b32 v10, 0x1ff, v11, v10
	v_cvt_f32_f16_e32 v8, v8
	v_cndmask_b32_e64 v20, v24, v0, s0
	v_cmp_gt_i32_e64 s0, 1, v22
	v_bfe_u32 v24, v11, 20, 11
	v_cndmask_b32_e64 v15, v23, v15, s0
	v_cmp_ne_u32_e64 s0, 0, v10
	v_lshrrev_b32_e32 v23, 8, v11
	v_and_b32_e32 v26, 7, v15
	v_cndmask_b32_e64 v10, 0, 1, s0
	v_mul_f64 v[0:1], v[12:13], s[4:5]
	v_sub_nc_u32_e32 v12, 0x3f1, v24
	v_lshrrev_b32_e32 v15, 2, v15
	v_cmp_lt_i32_e64 s0, 5, v26
	v_and_or_b32 v10, 0xffe, v23, v10
	v_cmp_eq_u32_e64 s1, 3, v26
	v_med3_i32 v12, v12, 0, 13
	v_and_or_b32 v13, 0x8000, v25, v20
	v_lshrrev_b32_e32 v26, 16, v9
	v_or_b32_e32 v19, 0x1000, v10
	s_or_b32 s0, s1, s0
	v_add_co_ci_u32_e64 v15, s0, 0, v15, s0
	v_lshrrev_b32_e32 v20, v12, v19
	v_lshl_or_b32 v21, v13, 16, v7
	v_cmp_gt_i32_e64 s0, 31, v22
	v_lshlrev_b32_e32 v7, v12, v20
	v_cndmask_b32_e64 v12, 0x7c00, v15, s0
	v_and_or_b32 v0, 0x1ff, v1, v0
	v_lshrrev_b32_e32 v15, 8, v1
	v_cmp_ne_u32_e64 s0, v7, v19
	v_cvt_f64_f32_e32 v[7:8], v8
	v_add_nc_u32_e32 v19, 0xfffffc10, v24
	v_bfe_u32 v23, v1, 20, 11
	v_lshrrev_b32_e32 v1, 16, v1
	v_cndmask_b32_e64 v13, 0, 1, s0
	v_cmp_ne_u32_e64 s0, 0, v0
	v_or_b32_e32 v13, v20, v13
	v_cndmask_b32_e64 v0, 0, 1, s0
	v_cmp_ne_u32_e64 s0, 0, v14
	v_lshl_or_b32 v20, v19, 12, v10
	v_and_or_b32 v0, 0xffe, v15, v0
	v_cndmask_b32_e64 v14, 0, 1, s0
	v_sub_nc_u32_e32 v15, 0x3f1, v23
	v_cmp_gt_i32_e64 s0, 1, v19
	v_or_b32_e32 v24, 0x1000, v0
	v_lshl_or_b32 v14, v14, 9, 0x7c00
	v_med3_i32 v15, v15, 0, 13
	v_cndmask_b32_e64 v20, v20, v13, s0
	v_cmp_eq_u32_e64 s0, 0x40f, v22
	v_mul_f64 v[7:8], v[7:8], s[4:5]
	v_lshrrev_b32_e32 v25, v15, v24
	v_and_b32_e32 v22, 7, v20
	v_cndmask_b32_e64 v14, v12, v14, s0
	v_add_co_u32 v12, s0, v17, s6
	v_mul_f16_sdwa v17, v91, v26 dst_sel:DWORD dst_unused:UNUSED_PAD src0_sel:WORD_1 src1_sel:DWORD
	v_add_co_ci_u32_e64 v13, s0, s7, v18, s0
	v_and_or_b32 v16, 0x8000, v16, v14
	v_lshlrev_b32_e32 v14, v15, v25
	v_cmp_lt_i32_e64 s0, 5, v22
	v_cmp_eq_u32_e64 s1, 3, v22
	v_lshrrev_b32_e32 v15, 2, v20
	v_fmac_f16_e32 v17, v91, v9
	v_cmp_ne_u32_e64 s2, v14, v24
	v_add_nc_u32_e32 v18, 0xfffffc10, v23
	s_or_b32 s0, s1, s0
	v_and_b32_e32 v16, 0xffff, v16
	v_add_co_ci_u32_e64 v20, s0, 0, v15, s0
	v_cndmask_b32_e64 v14, 0, 1, s2
	v_cvt_f32_f16_e32 v17, v17
	v_cmp_ne_u32_e64 s0, 0, v10
	v_and_or_b32 v7, 0x1ff, v8, v7
	v_bfe_u32 v23, v8, 20, 11
	v_or_b32_e32 v22, v25, v14
	v_cvt_f64_f32_e32 v[14:15], v17
	v_lshl_or_b32 v17, v18, 12, v0
	v_cndmask_b32_e64 v10, 0, 1, s0
	v_cmp_gt_i32_e64 s0, 1, v18
	v_mul_f16_sdwa v9, v91, v9 dst_sel:DWORD dst_unused:UNUSED_PAD src0_sel:WORD_1 src1_sel:DWORD
	v_lshl_or_b32 v10, v10, 9, 0x7c00
	v_cndmask_b32_e64 v17, v17, v22, s0
	v_cmp_ne_u32_e64 s0, 0, v7
	v_lshrrev_b32_e32 v22, 8, v8
	v_fma_f16 v9, v91, v26, -v9
	v_and_b32_e32 v24, 7, v17
	v_cndmask_b32_e64 v7, 0, 1, s0
	v_cmp_gt_i32_e64 s0, 31, v19
	v_lshrrev_b32_e32 v17, 2, v17
	v_cvt_f32_f16_e32 v9, v9
	v_cmp_eq_u32_e64 s1, 3, v24
	v_and_or_b32 v7, 0xffe, v22, v7
	v_cndmask_b32_e64 v20, 0x7c00, v20, s0
	v_cmp_eq_u32_e64 s0, 0x40f, v19
	v_lshrrev_b32_e32 v22, 16, v11
	v_or_b32_e32 v25, 0x1000, v7
	v_cndmask_b32_e64 v19, v20, v10, s0
	v_sub_nc_u32_e32 v20, 0x3f1, v23
	v_cmp_lt_i32_e64 s0, 5, v24
	v_mul_f64 v[10:11], v[14:15], s[4:5]
	v_and_or_b32 v15, 0x8000, v22, v19
	v_med3_i32 v14, v20, 0, 13
	s_or_b32 s0, s1, s0
	v_add_nc_u32_e32 v20, 0xfffffc10, v23
	v_add_co_ci_u32_e64 v17, s0, 0, v17, s0
	v_lshrrev_b32_e32 v19, v14, v25
	v_cmp_ne_u32_e64 s0, 0, v0
	v_lshl_or_b32 v16, v15, 16, v16
	v_lshlrev_b32_e32 v14, v14, v19
	v_cndmask_b32_e64 v0, 0, 1, s0
	v_cmp_gt_i32_e64 s0, 31, v18
	v_lshl_or_b32 v0, v0, 9, 0x7c00
	v_cndmask_b32_e64 v15, 0x7c00, v17, s0
	v_cmp_ne_u32_e64 s0, v14, v25
	ds_read_b32 v17, v89 offset:6000
	v_and_or_b32 v10, 0x1ff, v11, v10
	v_bfe_u32 v22, v11, 20, 11
	v_cndmask_b32_e64 v14, 0, 1, s0
	v_cmp_eq_u32_e64 s0, 0x40f, v18
	v_or_b32_e32 v14, v19, v14
	v_cndmask_b32_e64 v0, v15, v0, s0
	v_cmp_ne_u32_e64 s0, 0, v10
	v_lshl_or_b32 v15, v20, 12, v7
	v_lshrrev_b32_e32 v19, 8, v11
	v_cvt_f64_f32_e32 v[9:10], v9
	v_and_or_b32 v28, 0x8000, v1, v0
	v_cndmask_b32_e64 v18, 0, 1, s0
	v_cmp_gt_i32_e64 s0, 1, v20
	v_lshrrev_b32_e32 v11, 16, v11
	v_and_or_b32 v18, 0xffe, v19, v18
	v_cndmask_b32_e64 v23, v15, v14, s0
	v_sub_nc_u32_e32 v14, 0x3f1, v22
	s_waitcnt lgkmcnt(0)
	v_lshrrev_b32_e32 v19, 16, v17
	v_add_nc_u32_e32 v22, 0xfffffc10, v22
	v_or_b32_e32 v25, 0x1000, v18
	v_and_b32_e32 v24, 7, v23
	v_med3_i32 v26, v14, 0, 13
	v_mul_f16_sdwa v27, v90, v19 dst_sel:DWORD dst_unused:UNUSED_PAD src0_sel:WORD_1 src1_sel:DWORD
	v_add_co_u32 v14, s0, v12, s6
	v_add_co_ci_u32_e64 v15, s0, s7, v13, s0
	v_lshrrev_b32_e32 v29, v26, v25
	v_fmac_f16_e32 v27, v90, v17
	v_cmp_lt_i32_e64 s0, 5, v24
	v_cmp_eq_u32_e64 s1, 3, v24
	v_lshrrev_b32_e32 v23, 2, v23
	v_lshlrev_b32_e32 v24, v26, v29
	v_cvt_f32_f16_e32 v26, v27
	v_mul_f64 v[0:1], v[9:10], s[4:5]
	s_or_b32 s0, s1, s0
	v_mul_f16_sdwa v17, v90, v17 dst_sel:DWORD dst_unused:UNUSED_PAD src0_sel:WORD_1 src1_sel:DWORD
	v_add_co_ci_u32_e64 v23, s0, 0, v23, s0
	v_cmp_ne_u32_e64 s0, v24, v25
	v_cvt_f64_f32_e32 v[9:10], v26
	v_lshl_or_b32 v25, v22, 12, v18
	v_fma_f16 v17, v90, v19, -v17
	v_cndmask_b32_e64 v24, 0, 1, s0
	v_cmp_ne_u32_e64 s0, 0, v7
	v_cvt_f32_f16_e32 v17, v17
	v_or_b32_e32 v24, v29, v24
	v_cndmask_b32_e64 v7, 0, 1, s0
	v_cmp_gt_i32_e64 s0, 31, v20
	v_lshl_or_b32 v7, v7, 9, 0x7c00
	v_cndmask_b32_e64 v19, 0x7c00, v23, s0
	v_cmp_gt_i32_e64 s0, 1, v22
	v_and_or_b32 v0, 0x1ff, v1, v0
	v_cndmask_b32_e64 v23, v25, v24, s0
	v_cmp_eq_u32_e64 s0, 0x40f, v20
	v_mul_f64 v[9:10], v[9:10], s[4:5]
	v_lshrrev_b32_e32 v20, 16, v8
	v_lshrrev_b32_e32 v24, 8, v1
	v_bfe_u32 v25, v1, 20, 11
	v_cndmask_b32_e64 v19, v19, v7, s0
	v_cvt_f64_f32_e32 v[7:8], v17
	v_cmp_ne_u32_e64 s0, 0, v0
	v_and_b32_e32 v17, 7, v23
	v_lshrrev_b32_e32 v1, 16, v1
	v_and_or_b32 v19, 0x8000, v20, v19
	v_and_b32_e32 v20, 0xffff, v28
	v_cndmask_b32_e64 v0, 0, 1, s0
	v_cmp_lt_i32_e64 s0, 5, v17
	v_cmp_eq_u32_e64 s1, 3, v17
	v_lshl_or_b32 v17, v19, 16, v20
	v_lshrrev_b32_e32 v19, 2, v23
	v_and_or_b32 v0, 0xffe, v24, v0
	v_sub_nc_u32_e32 v24, 0x3f1, v25
	s_or_b32 s0, s1, s0
	v_add_co_ci_u32_e64 v19, s0, 0, v19, s0
	v_or_b32_e32 v20, 0x1000, v0
	v_med3_i32 v23, v24, 0, 13
	v_cmp_ne_u32_e64 s0, 0, v18
	v_and_or_b32 v9, 0x1ff, v10, v9
	v_mul_f64 v[7:8], v[7:8], s[4:5]
	v_lshrrev_b32_e32 v26, 8, v10
	v_lshrrev_b32_e32 v24, v23, v20
	v_cndmask_b32_e64 v18, 0, 1, s0
	v_cmp_gt_i32_e64 s0, 31, v22
	v_bfe_u32 v27, v10, 20, 11
	v_lshrrev_b32_e32 v10, 16, v10
	v_lshlrev_b32_e32 v23, v23, v24
	v_lshl_or_b32 v18, v18, 9, 0x7c00
	v_cndmask_b32_e64 v19, 0x7c00, v19, s0
	v_cmp_ne_u32_e64 s0, 0, v9
	v_cndmask_b32_e64 v9, 0, 1, s0
	v_cmp_ne_u32_e64 s0, v23, v20
	v_add_nc_u32_e32 v23, 0xfffffc10, v25
	v_sub_nc_u32_e32 v25, 0x3f1, v27
	v_and_or_b32 v9, 0xffe, v26, v9
	v_cndmask_b32_e64 v20, 0, 1, s0
	v_cmp_eq_u32_e64 s0, 0x40f, v22
	v_and_or_b32 v7, 0x1ff, v8, v7
	v_bfe_u32 v26, v8, 20, 11
	v_or_b32_e32 v22, 0x1000, v9
	v_cndmask_b32_e64 v18, v19, v18, s0
	v_or_b32_e32 v19, v24, v20
	v_lshl_or_b32 v20, v23, 12, v0
	v_med3_i32 v24, v25, 0, 13
	v_cmp_gt_i32_e64 s0, 1, v23
	v_lshrrev_b32_e32 v25, 8, v8
	v_and_or_b32 v11, 0x8000, v11, v18
	v_sub_nc_u32_e32 v18, 0x3f1, v26
	v_cndmask_b32_e64 v19, v20, v19, s0
	v_lshrrev_b32_e32 v20, v24, v22
	v_cmp_ne_u32_e64 s0, 0, v7
	v_med3_i32 v18, v18, 0, 13
	v_and_b32_e32 v28, 7, v19
	v_lshlrev_b32_e32 v24, v24, v20
	v_cndmask_b32_e64 v7, 0, 1, s0
	v_lshrrev_b32_e32 v19, 2, v19
	v_cmp_lt_i32_e64 s0, 5, v28
	v_cmp_ne_u32_e64 s1, v24, v22
	v_and_or_b32 v7, 0xffe, v25, v7
	v_add_nc_u32_e32 v25, 0xfffffc10, v27
	v_cndmask_b32_e64 v22, 0, 1, s1
	v_cmp_eq_u32_e64 s1, 3, v28
	v_or_b32_e32 v24, 0x1000, v7
	v_lshl_or_b32 v27, v25, 12, v9
	v_or_b32_e32 v20, v20, v22
	s_or_b32 s0, s1, s0
	v_lshrrev_b32_e32 v22, v18, v24
	v_add_co_ci_u32_e64 v19, s0, 0, v19, s0
	v_cmp_gt_i32_e64 s0, 1, v25
	v_lshlrev_b32_e32 v18, v18, v22
	v_cndmask_b32_e64 v20, v27, v20, s0
	v_cmp_ne_u32_e64 s0, 0, v0
	v_cndmask_b32_e64 v0, 0, 1, s0
	v_cmp_ne_u32_e64 s0, v18, v24
	v_add_nc_u32_e32 v24, 0xfffffc10, v26
	v_and_b32_e32 v26, 7, v20
	v_lshl_or_b32 v0, v0, 9, 0x7c00
	v_cndmask_b32_e64 v18, 0, 1, s0
	v_cmp_gt_i32_e64 s0, 31, v23
	v_cmp_gt_i32_e64 s2, 1, v24
	v_cmp_eq_u32_e64 s1, 3, v26
	v_or_b32_e32 v18, v22, v18
	v_lshl_or_b32 v22, v24, 12, v7
	v_cndmask_b32_e64 v19, 0x7c00, v19, s0
	v_cmp_lt_i32_e64 s0, 5, v26
	v_cndmask_b32_e64 v18, v22, v18, s2
	v_cmp_eq_u32_e64 s2, 0x40f, v23
	s_or_b32 s0, s1, s0
	v_cndmask_b32_e64 v0, v19, v0, s2
	v_lshrrev_b32_e32 v19, 2, v20
	v_and_b32_e32 v20, 7, v18
	v_lshrrev_b32_e32 v18, 2, v18
	v_cmp_gt_i32_e64 s2, 31, v25
	v_and_or_b32 v0, 0x8000, v1, v0
	v_add_co_ci_u32_e64 v19, s0, 0, v19, s0
	v_cmp_ne_u32_e64 s0, 0, v9
	v_cmp_eq_u32_e64 s1, 3, v20
	v_and_b32_e32 v1, 0xffff, v11
	v_cndmask_b32_e64 v19, 0x7c00, v19, s2
	v_lshrrev_b32_e32 v11, 16, v8
	v_cndmask_b32_e64 v9, 0, 1, s0
	v_cmp_lt_i32_e64 s0, 5, v20
	v_lshl_or_b32 v9, v9, 9, 0x7c00
	s_or_b32 s0, s1, s0
	v_add_co_ci_u32_e64 v18, s0, 0, v18, s0
	v_cmp_ne_u32_e64 s0, 0, v7
	v_cndmask_b32_e64 v7, 0, 1, s0
	v_cmp_eq_u32_e64 s0, 0x40f, v25
	v_lshl_or_b32 v7, v7, 9, 0x7c00
	v_cndmask_b32_e64 v9, v19, v9, s0
	v_cmp_gt_i32_e64 s0, 31, v24
	v_and_or_b32 v9, 0x8000, v10, v9
	v_cndmask_b32_e64 v18, 0x7c00, v18, s0
	v_cmp_eq_u32_e64 s0, 0x40f, v24
	v_cndmask_b32_e64 v10, v18, v7, s0
	v_add_co_u32 v7, s0, v14, s6
	v_add_co_ci_u32_e64 v8, s0, s7, v15, s0
	v_lshl_or_b32 v18, v0, 16, v1
	v_and_or_b32 v0, 0x8000, v11, v10
	v_and_b32_e32 v1, 0xffff, v9
	v_add_co_u32 v9, s0, v7, s6
	v_add_co_ci_u32_e64 v10, s0, s7, v8, s0
	v_lshl_or_b32 v11, v0, 16, v1
	v_add_co_u32 v0, s0, v9, s6
	v_add_co_ci_u32_e64 v1, s0, s7, v10, s0
	global_store_dword v[12:13], v21, off
	global_store_dword v[14:15], v16, off
	;; [unrolled: 1-line block ×5, first 2 shown]
	s_and_b32 exec_lo, exec_lo, vcc_lo
	s_cbranch_execz .LBB0_15
; %bb.14:
	global_load_dword v7, v[60:61], off offset:260
	ds_read_b32 v8, v105 offset:260
	v_mad_u64_u32 v[0:1], null, 0xffffe994, s8, v[0:1]
	s_waitcnt lgkmcnt(0)
	v_lshrrev_b32_e32 v9, 16, v8
	s_waitcnt vmcnt(0)
	v_mul_f16_sdwa v10, v9, v7 dst_sel:DWORD dst_unused:UNUSED_PAD src0_sel:DWORD src1_sel:WORD_1
	v_mul_f16_sdwa v11, v8, v7 dst_sel:DWORD dst_unused:UNUSED_PAD src0_sel:DWORD src1_sel:WORD_1
	v_fmac_f16_e32 v10, v8, v7
	v_fma_f16 v7, v7, v9, -v11
	v_cvt_f32_f16_e32 v8, v10
	v_cvt_f32_f16_e32 v9, v7
	v_cvt_f64_f32_e32 v[7:8], v8
	v_cvt_f64_f32_e32 v[9:10], v9
	v_mul_f64 v[7:8], v[7:8], s[4:5]
	v_mul_f64 v[9:10], v[9:10], s[4:5]
	v_and_or_b32 v7, 0x1ff, v8, v7
	v_and_or_b32 v9, 0x1ff, v10, v9
	v_lshrrev_b32_e32 v11, 8, v8
	v_bfe_u32 v12, v8, 20, 11
	v_lshrrev_b32_e32 v13, 8, v10
	v_cmp_ne_u32_e32 vcc_lo, 0, v7
	v_bfe_u32 v14, v10, 20, 11
	v_lshrrev_b32_e32 v8, 16, v8
	v_sub_nc_u32_e32 v15, 0x3f1, v12
	v_add_nc_u32_e32 v12, 0xfffffc10, v12
	v_cndmask_b32_e64 v7, 0, 1, vcc_lo
	v_cmp_ne_u32_e32 vcc_lo, 0, v9
	v_lshrrev_b32_e32 v10, 16, v10
	v_and_or_b32 v7, 0xffe, v11, v7
	v_cndmask_b32_e64 v9, 0, 1, vcc_lo
	v_sub_nc_u32_e32 v11, 0x3f1, v14
	v_add_nc_u32_e32 v14, 0xfffffc10, v14
	v_and_or_b32 v9, 0xffe, v13, v9
	v_med3_i32 v13, v15, 0, 13
	v_or_b32_e32 v15, 0x1000, v7
	v_med3_i32 v11, v11, 0, 13
	v_or_b32_e32 v16, 0x1000, v9
	v_lshrrev_b32_e32 v17, v13, v15
	v_lshrrev_b32_e32 v18, v11, v16
	v_lshlrev_b32_e32 v13, v13, v17
	v_lshlrev_b32_e32 v11, v11, v18
	v_cmp_ne_u32_e32 vcc_lo, v13, v15
	v_lshl_or_b32 v15, v12, 12, v7
	v_cndmask_b32_e64 v13, 0, 1, vcc_lo
	v_cmp_ne_u32_e32 vcc_lo, v11, v16
	v_lshl_or_b32 v16, v14, 12, v9
	v_or_b32_e32 v13, v17, v13
	v_cndmask_b32_e64 v11, 0, 1, vcc_lo
	v_cmp_gt_i32_e32 vcc_lo, 1, v12
	v_or_b32_e32 v11, v18, v11
	v_cndmask_b32_e32 v13, v15, v13, vcc_lo
	v_cmp_gt_i32_e32 vcc_lo, 1, v14
	v_and_b32_e32 v15, 7, v13
	v_cndmask_b32_e32 v11, v16, v11, vcc_lo
	v_cmp_ne_u32_e32 vcc_lo, 0, v7
	v_lshrrev_b32_e32 v13, 2, v13
	v_cmp_eq_u32_e64 s0, 3, v15
	v_and_b32_e32 v16, 7, v11
	v_cndmask_b32_e64 v7, 0, 1, vcc_lo
	v_cmp_ne_u32_e32 vcc_lo, 0, v9
	v_lshrrev_b32_e32 v11, 2, v11
	v_cmp_lt_i32_e64 s1, 5, v16
	v_cmp_eq_u32_e64 s2, 3, v16
	v_cndmask_b32_e64 v9, 0, 1, vcc_lo
	v_cmp_lt_i32_e32 vcc_lo, 5, v15
	v_lshl_or_b32 v7, v7, 9, 0x7c00
	v_lshl_or_b32 v9, v9, 9, 0x7c00
	s_or_b32 vcc_lo, s0, vcc_lo
	s_mul_i32 s0, s9, 0xffffe994
	v_add_co_ci_u32_e32 v13, vcc_lo, 0, v13, vcc_lo
	s_or_b32 vcc_lo, s2, s1
	s_sub_i32 s0, s0, s8
	v_add_co_ci_u32_e32 v11, vcc_lo, 0, v11, vcc_lo
	v_cmp_gt_i32_e32 vcc_lo, 31, v12
	v_add_nc_u32_e32 v1, s0, v1
	v_cndmask_b32_e32 v13, 0x7c00, v13, vcc_lo
	v_cmp_gt_i32_e32 vcc_lo, 31, v14
	v_cndmask_b32_e32 v11, 0x7c00, v11, vcc_lo
	v_cmp_eq_u32_e32 vcc_lo, 0x40f, v12
	v_cndmask_b32_e32 v7, v13, v7, vcc_lo
	v_cmp_eq_u32_e32 vcc_lo, 0x40f, v14
	v_and_or_b32 v7, 0x8000, v8, v7
	v_cndmask_b32_e32 v9, v11, v9, vcc_lo
	v_and_b32_e32 v7, 0xffff, v7
	v_and_or_b32 v8, 0x8000, v10, v9
	v_lshl_or_b32 v7, v8, 16, v7
	global_store_dword v[0:1], v7, off
	global_load_dword v9, v[60:61], off offset:760
	ds_read2_b32 v[7:8], v2 offset0:62 offset1:187
	s_waitcnt lgkmcnt(0)
	v_lshrrev_b32_e32 v2, 16, v7
	s_waitcnt vmcnt(0)
	v_mul_f16_sdwa v10, v2, v9 dst_sel:DWORD dst_unused:UNUSED_PAD src0_sel:DWORD src1_sel:WORD_1
	v_mul_f16_sdwa v11, v7, v9 dst_sel:DWORD dst_unused:UNUSED_PAD src0_sel:DWORD src1_sel:WORD_1
	v_fmac_f16_e32 v10, v7, v9
	v_fma_f16 v2, v9, v2, -v11
	v_cvt_f32_f16_e32 v7, v10
	v_cvt_f32_f16_e32 v2, v2
	v_cvt_f64_f32_e32 v[9:10], v7
	v_cvt_f64_f32_e32 v[11:12], v2
	v_mul_f64 v[9:10], v[9:10], s[4:5]
	v_mul_f64 v[11:12], v[11:12], s[4:5]
	v_and_or_b32 v2, 0x1ff, v10, v9
	v_and_or_b32 v11, 0x1ff, v12, v11
	v_lshrrev_b32_e32 v7, 8, v10
	v_bfe_u32 v9, v10, 20, 11
	v_lshrrev_b32_e32 v13, 8, v12
	v_cmp_ne_u32_e32 vcc_lo, 0, v2
	v_bfe_u32 v14, v12, 20, 11
	v_lshrrev_b32_e32 v10, 16, v10
	v_sub_nc_u32_e32 v15, 0x3f1, v9
	v_add_nc_u32_e32 v9, 0xfffffc10, v9
	v_cndmask_b32_e64 v2, 0, 1, vcc_lo
	v_cmp_ne_u32_e32 vcc_lo, 0, v11
	v_and_or_b32 v2, 0xffe, v7, v2
	v_cndmask_b32_e64 v11, 0, 1, vcc_lo
	v_sub_nc_u32_e32 v7, 0x3f1, v14
	v_add_nc_u32_e32 v14, 0xfffffc10, v14
	v_and_or_b32 v11, 0xffe, v13, v11
	v_med3_i32 v13, v15, 0, 13
	v_or_b32_e32 v15, 0x1000, v2
	v_med3_i32 v7, v7, 0, 13
	v_or_b32_e32 v16, 0x1000, v11
	v_lshrrev_b32_e32 v17, v13, v15
	v_lshrrev_b32_e32 v18, v7, v16
	v_lshlrev_b32_e32 v13, v13, v17
	v_lshlrev_b32_e32 v7, v7, v18
	v_cmp_ne_u32_e32 vcc_lo, v13, v15
	v_lshl_or_b32 v15, v9, 12, v2
	v_cndmask_b32_e64 v13, 0, 1, vcc_lo
	v_cmp_ne_u32_e32 vcc_lo, v7, v16
	v_lshl_or_b32 v16, v14, 12, v11
	v_or_b32_e32 v13, v17, v13
	v_cndmask_b32_e64 v7, 0, 1, vcc_lo
	v_cmp_gt_i32_e32 vcc_lo, 1, v9
	v_or_b32_e32 v7, v18, v7
	v_cndmask_b32_e32 v13, v15, v13, vcc_lo
	v_cmp_gt_i32_e32 vcc_lo, 1, v14
	v_and_b32_e32 v15, 7, v13
	v_cndmask_b32_e32 v7, v16, v7, vcc_lo
	v_cmp_ne_u32_e32 vcc_lo, 0, v2
	v_lshrrev_b32_e32 v13, 2, v13
	v_cmp_eq_u32_e64 s0, 3, v15
	v_and_b32_e32 v16, 7, v7
	v_cndmask_b32_e64 v2, 0, 1, vcc_lo
	v_cmp_ne_u32_e32 vcc_lo, 0, v11
	v_lshrrev_b32_e32 v7, 2, v7
	v_cmp_lt_i32_e64 s1, 5, v16
	v_cmp_eq_u32_e64 s2, 3, v16
	v_cndmask_b32_e64 v11, 0, 1, vcc_lo
	v_cmp_lt_i32_e32 vcc_lo, 5, v15
	v_lshl_or_b32 v2, v2, 9, 0x7c00
	v_lshl_or_b32 v11, v11, 9, 0x7c00
	s_or_b32 vcc_lo, s0, vcc_lo
	v_add_co_ci_u32_e32 v13, vcc_lo, 0, v13, vcc_lo
	s_or_b32 vcc_lo, s2, s1
	v_add_co_ci_u32_e32 v7, vcc_lo, 0, v7, vcc_lo
	v_cmp_gt_i32_e32 vcc_lo, 31, v9
	v_cndmask_b32_e32 v13, 0x7c00, v13, vcc_lo
	v_cmp_gt_i32_e32 vcc_lo, 31, v14
	v_cndmask_b32_e32 v7, 0x7c00, v7, vcc_lo
	v_cmp_eq_u32_e32 vcc_lo, 0x40f, v9
	v_lshrrev_b32_e32 v9, 16, v12
	v_cndmask_b32_e32 v2, v13, v2, vcc_lo
	v_cmp_eq_u32_e32 vcc_lo, 0x40f, v14
	v_and_or_b32 v2, 0x8000, v10, v2
	v_cndmask_b32_e32 v7, v7, v11, vcc_lo
	v_add_co_u32 v0, vcc_lo, v0, s6
	v_add_co_ci_u32_e32 v1, vcc_lo, s7, v1, vcc_lo
	v_and_or_b32 v7, 0x8000, v9, v7
	v_and_b32_e32 v2, 0xffff, v2
	v_lshl_or_b32 v2, v7, 16, v2
	v_lshrrev_b32_e32 v7, 16, v8
	global_store_dword v[0:1], v2, off
	global_load_dword v2, v[60:61], off offset:1260
	s_waitcnt vmcnt(0)
	v_mul_f16_sdwa v9, v7, v2 dst_sel:DWORD dst_unused:UNUSED_PAD src0_sel:DWORD src1_sel:WORD_1
	v_mul_f16_sdwa v10, v8, v2 dst_sel:DWORD dst_unused:UNUSED_PAD src0_sel:DWORD src1_sel:WORD_1
	v_fmac_f16_e32 v9, v8, v2
	v_fma_f16 v2, v2, v7, -v10
	v_cvt_f32_f16_e32 v7, v9
	v_cvt_f32_f16_e32 v2, v2
	v_cvt_f64_f32_e32 v[7:8], v7
	v_cvt_f64_f32_e32 v[9:10], v2
	v_mul_f64 v[7:8], v[7:8], s[4:5]
	v_mul_f64 v[9:10], v[9:10], s[4:5]
	v_and_or_b32 v2, 0x1ff, v8, v7
	v_and_or_b32 v9, 0x1ff, v10, v9
	v_lshrrev_b32_e32 v7, 8, v8
	v_bfe_u32 v11, v8, 20, 11
	v_lshrrev_b32_e32 v12, 8, v10
	v_cmp_ne_u32_e32 vcc_lo, 0, v2
	v_bfe_u32 v13, v10, 20, 11
	v_lshrrev_b32_e32 v8, 16, v8
	v_sub_nc_u32_e32 v14, 0x3f1, v11
	v_add_nc_u32_e32 v11, 0xfffffc10, v11
	v_cndmask_b32_e64 v2, 0, 1, vcc_lo
	v_cmp_ne_u32_e32 vcc_lo, 0, v9
	v_lshrrev_b32_e32 v10, 16, v10
	v_and_or_b32 v2, 0xffe, v7, v2
	v_cndmask_b32_e64 v9, 0, 1, vcc_lo
	v_sub_nc_u32_e32 v7, 0x3f1, v13
	v_add_nc_u32_e32 v13, 0xfffffc10, v13
	v_and_or_b32 v9, 0xffe, v12, v9
	v_med3_i32 v12, v14, 0, 13
	v_or_b32_e32 v14, 0x1000, v2
	v_med3_i32 v7, v7, 0, 13
	v_or_b32_e32 v15, 0x1000, v9
	v_lshrrev_b32_e32 v16, v12, v14
	v_lshrrev_b32_e32 v17, v7, v15
	v_lshlrev_b32_e32 v12, v12, v16
	v_lshlrev_b32_e32 v7, v7, v17
	v_cmp_ne_u32_e32 vcc_lo, v12, v14
	v_lshl_or_b32 v14, v11, 12, v2
	v_cndmask_b32_e64 v12, 0, 1, vcc_lo
	v_cmp_ne_u32_e32 vcc_lo, v7, v15
	v_lshl_or_b32 v15, v13, 12, v9
	v_or_b32_e32 v12, v16, v12
	v_cndmask_b32_e64 v7, 0, 1, vcc_lo
	v_cmp_gt_i32_e32 vcc_lo, 1, v11
	v_or_b32_e32 v7, v17, v7
	v_cndmask_b32_e32 v12, v14, v12, vcc_lo
	v_cmp_gt_i32_e32 vcc_lo, 1, v13
	v_and_b32_e32 v14, 7, v12
	v_cndmask_b32_e32 v7, v15, v7, vcc_lo
	v_cmp_ne_u32_e32 vcc_lo, 0, v2
	v_lshrrev_b32_e32 v12, 2, v12
	v_cmp_eq_u32_e64 s0, 3, v14
	v_and_b32_e32 v15, 7, v7
	v_cndmask_b32_e64 v2, 0, 1, vcc_lo
	v_cmp_ne_u32_e32 vcc_lo, 0, v9
	v_lshrrev_b32_e32 v7, 2, v7
	v_cmp_lt_i32_e64 s1, 5, v15
	v_cmp_eq_u32_e64 s2, 3, v15
	v_cndmask_b32_e64 v9, 0, 1, vcc_lo
	v_cmp_lt_i32_e32 vcc_lo, 5, v14
	v_lshl_or_b32 v2, v2, 9, 0x7c00
	v_lshl_or_b32 v9, v9, 9, 0x7c00
	s_or_b32 vcc_lo, s0, vcc_lo
	v_add_co_ci_u32_e32 v12, vcc_lo, 0, v12, vcc_lo
	s_or_b32 vcc_lo, s2, s1
	v_add_co_ci_u32_e32 v7, vcc_lo, 0, v7, vcc_lo
	v_cmp_gt_i32_e32 vcc_lo, 31, v11
	v_cndmask_b32_e32 v12, 0x7c00, v12, vcc_lo
	v_cmp_gt_i32_e32 vcc_lo, 31, v13
	v_cndmask_b32_e32 v7, 0x7c00, v7, vcc_lo
	v_cmp_eq_u32_e32 vcc_lo, 0x40f, v11
	v_cndmask_b32_e32 v2, v12, v2, vcc_lo
	v_cmp_eq_u32_e32 vcc_lo, 0x40f, v13
	v_and_or_b32 v2, 0x8000, v8, v2
	v_cndmask_b32_e32 v7, v7, v9, vcc_lo
	v_add_co_u32 v0, vcc_lo, v0, s6
	v_add_co_ci_u32_e32 v1, vcc_lo, s7, v1, vcc_lo
	v_and_or_b32 v7, 0x8000, v10, v7
	v_and_b32_e32 v2, 0xffff, v2
	v_lshl_or_b32 v2, v7, 16, v2
	global_store_dword v[0:1], v2, off
	global_load_dword v7, v[60:61], off offset:1760
	ds_read2_b32 v[2:3], v3 offset0:56 offset1:181
	s_waitcnt lgkmcnt(0)
	v_lshrrev_b32_e32 v8, 16, v2
	s_waitcnt vmcnt(0)
	v_mul_f16_sdwa v9, v8, v7 dst_sel:DWORD dst_unused:UNUSED_PAD src0_sel:DWORD src1_sel:WORD_1
	v_mul_f16_sdwa v10, v2, v7 dst_sel:DWORD dst_unused:UNUSED_PAD src0_sel:DWORD src1_sel:WORD_1
	v_fmac_f16_e32 v9, v2, v7
	v_fma_f16 v2, v7, v8, -v10
	v_cvt_f32_f16_e32 v7, v9
	v_cvt_f32_f16_e32 v2, v2
	v_cvt_f64_f32_e32 v[7:8], v7
	v_cvt_f64_f32_e32 v[9:10], v2
	v_mul_f64 v[7:8], v[7:8], s[4:5]
	v_mul_f64 v[9:10], v[9:10], s[4:5]
	v_and_or_b32 v2, 0x1ff, v8, v7
	v_and_or_b32 v9, 0x1ff, v10, v9
	v_lshrrev_b32_e32 v7, 8, v8
	v_bfe_u32 v11, v8, 20, 11
	v_lshrrev_b32_e32 v12, 8, v10
	v_cmp_ne_u32_e32 vcc_lo, 0, v2
	v_bfe_u32 v13, v10, 20, 11
	v_lshrrev_b32_e32 v8, 16, v8
	v_sub_nc_u32_e32 v14, 0x3f1, v11
	v_add_nc_u32_e32 v11, 0xfffffc10, v11
	v_cndmask_b32_e64 v2, 0, 1, vcc_lo
	v_cmp_ne_u32_e32 vcc_lo, 0, v9
	v_lshrrev_b32_e32 v10, 16, v10
	v_and_or_b32 v2, 0xffe, v7, v2
	v_cndmask_b32_e64 v9, 0, 1, vcc_lo
	v_sub_nc_u32_e32 v7, 0x3f1, v13
	v_add_nc_u32_e32 v13, 0xfffffc10, v13
	v_and_or_b32 v9, 0xffe, v12, v9
	v_med3_i32 v12, v14, 0, 13
	v_or_b32_e32 v14, 0x1000, v2
	v_med3_i32 v7, v7, 0, 13
	v_or_b32_e32 v15, 0x1000, v9
	v_lshrrev_b32_e32 v16, v12, v14
	v_lshrrev_b32_e32 v17, v7, v15
	v_lshlrev_b32_e32 v12, v12, v16
	v_lshlrev_b32_e32 v7, v7, v17
	v_cmp_ne_u32_e32 vcc_lo, v12, v14
	v_lshl_or_b32 v14, v11, 12, v2
	v_cndmask_b32_e64 v12, 0, 1, vcc_lo
	v_cmp_ne_u32_e32 vcc_lo, v7, v15
	v_lshl_or_b32 v15, v13, 12, v9
	v_or_b32_e32 v12, v16, v12
	v_cndmask_b32_e64 v7, 0, 1, vcc_lo
	v_cmp_gt_i32_e32 vcc_lo, 1, v11
	v_or_b32_e32 v7, v17, v7
	v_cndmask_b32_e32 v12, v14, v12, vcc_lo
	v_cmp_gt_i32_e32 vcc_lo, 1, v13
	v_and_b32_e32 v14, 7, v12
	v_cndmask_b32_e32 v7, v15, v7, vcc_lo
	v_cmp_ne_u32_e32 vcc_lo, 0, v2
	v_lshrrev_b32_e32 v12, 2, v12
	v_cmp_eq_u32_e64 s0, 3, v14
	v_and_b32_e32 v15, 7, v7
	v_cndmask_b32_e64 v2, 0, 1, vcc_lo
	v_cmp_ne_u32_e32 vcc_lo, 0, v9
	v_lshrrev_b32_e32 v7, 2, v7
	v_cmp_lt_i32_e64 s1, 5, v15
	v_cmp_eq_u32_e64 s2, 3, v15
	v_cndmask_b32_e64 v9, 0, 1, vcc_lo
	v_cmp_lt_i32_e32 vcc_lo, 5, v14
	v_lshl_or_b32 v2, v2, 9, 0x7c00
	v_lshl_or_b32 v9, v9, 9, 0x7c00
	s_or_b32 vcc_lo, s0, vcc_lo
	v_add_co_ci_u32_e32 v12, vcc_lo, 0, v12, vcc_lo
	s_or_b32 vcc_lo, s2, s1
	v_add_co_ci_u32_e32 v7, vcc_lo, 0, v7, vcc_lo
	v_cmp_gt_i32_e32 vcc_lo, 31, v11
	v_cndmask_b32_e32 v12, 0x7c00, v12, vcc_lo
	v_cmp_gt_i32_e32 vcc_lo, 31, v13
	v_cndmask_b32_e32 v7, 0x7c00, v7, vcc_lo
	v_cmp_eq_u32_e32 vcc_lo, 0x40f, v11
	v_cndmask_b32_e32 v2, v12, v2, vcc_lo
	v_cmp_eq_u32_e32 vcc_lo, 0x40f, v13
	v_and_or_b32 v2, 0x8000, v8, v2
	v_cndmask_b32_e32 v7, v7, v9, vcc_lo
	v_add_co_u32 v0, vcc_lo, v0, s6
	v_add_co_ci_u32_e32 v1, vcc_lo, s7, v1, vcc_lo
	v_and_or_b32 v7, 0x8000, v10, v7
	v_and_b32_e32 v2, 0xffff, v2
	v_lshl_or_b32 v2, v7, 16, v2
	v_lshrrev_b32_e32 v7, 16, v3
	global_store_dword v[0:1], v2, off
	global_load_dword v2, v[58:59], off offset:212
	s_waitcnt vmcnt(0)
	v_mul_f16_sdwa v8, v7, v2 dst_sel:DWORD dst_unused:UNUSED_PAD src0_sel:DWORD src1_sel:WORD_1
	v_mul_f16_sdwa v9, v3, v2 dst_sel:DWORD dst_unused:UNUSED_PAD src0_sel:DWORD src1_sel:WORD_1
	v_fmac_f16_e32 v8, v3, v2
	v_fma_f16 v2, v2, v7, -v9
	v_cvt_f32_f16_e32 v3, v8
	v_cvt_f32_f16_e32 v7, v2
	v_cvt_f64_f32_e32 v[2:3], v3
	v_cvt_f64_f32_e32 v[7:8], v7
	v_mul_f64 v[2:3], v[2:3], s[4:5]
	v_mul_f64 v[7:8], v[7:8], s[4:5]
	v_and_or_b32 v2, 0x1ff, v3, v2
	v_and_or_b32 v7, 0x1ff, v8, v7
	v_lshrrev_b32_e32 v9, 8, v3
	v_bfe_u32 v10, v3, 20, 11
	v_lshrrev_b32_e32 v11, 8, v8
	v_cmp_ne_u32_e32 vcc_lo, 0, v2
	v_bfe_u32 v12, v8, 20, 11
	v_lshrrev_b32_e32 v3, 16, v3
	v_sub_nc_u32_e32 v13, 0x3f1, v10
	v_add_nc_u32_e32 v10, 0xfffffc10, v10
	v_cndmask_b32_e64 v2, 0, 1, vcc_lo
	v_cmp_ne_u32_e32 vcc_lo, 0, v7
	v_lshrrev_b32_e32 v8, 16, v8
	v_and_or_b32 v2, 0xffe, v9, v2
	v_cndmask_b32_e64 v7, 0, 1, vcc_lo
	v_sub_nc_u32_e32 v9, 0x3f1, v12
	v_add_nc_u32_e32 v12, 0xfffffc10, v12
	v_and_or_b32 v7, 0xffe, v11, v7
	v_med3_i32 v11, v13, 0, 13
	v_or_b32_e32 v13, 0x1000, v2
	v_med3_i32 v9, v9, 0, 13
	v_or_b32_e32 v14, 0x1000, v7
	v_lshrrev_b32_e32 v15, v11, v13
	v_lshrrev_b32_e32 v16, v9, v14
	v_lshlrev_b32_e32 v11, v11, v15
	v_lshlrev_b32_e32 v9, v9, v16
	v_cmp_ne_u32_e32 vcc_lo, v11, v13
	v_lshl_or_b32 v13, v10, 12, v2
	v_cndmask_b32_e64 v11, 0, 1, vcc_lo
	v_cmp_ne_u32_e32 vcc_lo, v9, v14
	v_lshl_or_b32 v14, v12, 12, v7
	v_or_b32_e32 v11, v15, v11
	v_cndmask_b32_e64 v9, 0, 1, vcc_lo
	v_cmp_gt_i32_e32 vcc_lo, 1, v10
	v_or_b32_e32 v9, v16, v9
	v_cndmask_b32_e32 v11, v13, v11, vcc_lo
	v_cmp_gt_i32_e32 vcc_lo, 1, v12
	v_and_b32_e32 v13, 7, v11
	v_cndmask_b32_e32 v9, v14, v9, vcc_lo
	v_cmp_ne_u32_e32 vcc_lo, 0, v2
	v_lshrrev_b32_e32 v11, 2, v11
	v_cmp_eq_u32_e64 s0, 3, v13
	v_and_b32_e32 v14, 7, v9
	v_cndmask_b32_e64 v2, 0, 1, vcc_lo
	v_cmp_ne_u32_e32 vcc_lo, 0, v7
	v_lshrrev_b32_e32 v9, 2, v9
	v_cmp_lt_i32_e64 s1, 5, v14
	v_cmp_eq_u32_e64 s2, 3, v14
	v_cndmask_b32_e64 v7, 0, 1, vcc_lo
	v_cmp_lt_i32_e32 vcc_lo, 5, v13
	v_lshl_or_b32 v2, v2, 9, 0x7c00
	v_lshl_or_b32 v7, v7, 9, 0x7c00
	s_or_b32 vcc_lo, s0, vcc_lo
	v_add_co_ci_u32_e32 v11, vcc_lo, 0, v11, vcc_lo
	s_or_b32 vcc_lo, s2, s1
	v_add_co_ci_u32_e32 v9, vcc_lo, 0, v9, vcc_lo
	v_cmp_gt_i32_e32 vcc_lo, 31, v10
	v_cndmask_b32_e32 v11, 0x7c00, v11, vcc_lo
	v_cmp_gt_i32_e32 vcc_lo, 31, v12
	v_cndmask_b32_e32 v9, 0x7c00, v9, vcc_lo
	v_cmp_eq_u32_e32 vcc_lo, 0x40f, v10
	v_cndmask_b32_e32 v2, v11, v2, vcc_lo
	v_cmp_eq_u32_e32 vcc_lo, 0x40f, v12
	v_and_or_b32 v2, 0x8000, v3, v2
	v_cndmask_b32_e32 v7, v9, v7, vcc_lo
	v_add_co_u32 v0, vcc_lo, v0, s6
	v_add_co_ci_u32_e32 v1, vcc_lo, s7, v1, vcc_lo
	v_and_or_b32 v3, 0x8000, v8, v7
	v_and_b32_e32 v2, 0xffff, v2
	v_lshl_or_b32 v2, v3, 16, v2
	global_store_dword v[0:1], v2, off
	global_load_dword v7, v[58:59], off offset:712
	ds_read2_b32 v[2:3], v4 offset0:50 offset1:175
	s_waitcnt lgkmcnt(0)
	v_lshrrev_b32_e32 v4, 16, v2
	s_waitcnt vmcnt(0)
	v_mul_f16_sdwa v8, v4, v7 dst_sel:DWORD dst_unused:UNUSED_PAD src0_sel:DWORD src1_sel:WORD_1
	v_mul_f16_sdwa v9, v2, v7 dst_sel:DWORD dst_unused:UNUSED_PAD src0_sel:DWORD src1_sel:WORD_1
	v_fmac_f16_e32 v8, v2, v7
	v_fma_f16 v2, v7, v4, -v9
	v_cvt_f32_f16_e32 v4, v8
	v_cvt_f32_f16_e32 v2, v2
	v_cvt_f64_f32_e32 v[7:8], v4
	v_cvt_f64_f32_e32 v[9:10], v2
	v_mul_f64 v[7:8], v[7:8], s[4:5]
	v_mul_f64 v[9:10], v[9:10], s[4:5]
	v_and_or_b32 v2, 0x1ff, v8, v7
	v_and_or_b32 v9, 0x1ff, v10, v9
	v_lshrrev_b32_e32 v4, 8, v8
	v_bfe_u32 v7, v8, 20, 11
	v_lshrrev_b32_e32 v11, 8, v10
	v_cmp_ne_u32_e32 vcc_lo, 0, v2
	v_bfe_u32 v12, v10, 20, 11
	v_lshrrev_b32_e32 v8, 16, v8
	v_sub_nc_u32_e32 v13, 0x3f1, v7
	v_add_nc_u32_e32 v7, 0xfffffc10, v7
	v_cndmask_b32_e64 v2, 0, 1, vcc_lo
	v_cmp_ne_u32_e32 vcc_lo, 0, v9
	v_and_or_b32 v2, 0xffe, v4, v2
	v_cndmask_b32_e64 v9, 0, 1, vcc_lo
	v_sub_nc_u32_e32 v4, 0x3f1, v12
	v_add_nc_u32_e32 v12, 0xfffffc10, v12
	v_and_or_b32 v9, 0xffe, v11, v9
	v_med3_i32 v11, v13, 0, 13
	v_or_b32_e32 v13, 0x1000, v2
	v_med3_i32 v4, v4, 0, 13
	v_or_b32_e32 v14, 0x1000, v9
	v_lshrrev_b32_e32 v15, v11, v13
	v_lshrrev_b32_e32 v16, v4, v14
	v_lshlrev_b32_e32 v11, v11, v15
	v_lshlrev_b32_e32 v4, v4, v16
	v_cmp_ne_u32_e32 vcc_lo, v11, v13
	v_lshl_or_b32 v13, v7, 12, v2
	v_cndmask_b32_e64 v11, 0, 1, vcc_lo
	v_cmp_ne_u32_e32 vcc_lo, v4, v14
	v_lshl_or_b32 v14, v12, 12, v9
	v_or_b32_e32 v11, v15, v11
	v_cndmask_b32_e64 v4, 0, 1, vcc_lo
	v_cmp_gt_i32_e32 vcc_lo, 1, v7
	v_or_b32_e32 v4, v16, v4
	v_cndmask_b32_e32 v11, v13, v11, vcc_lo
	v_cmp_gt_i32_e32 vcc_lo, 1, v12
	v_and_b32_e32 v13, 7, v11
	v_cndmask_b32_e32 v4, v14, v4, vcc_lo
	v_cmp_ne_u32_e32 vcc_lo, 0, v2
	v_lshrrev_b32_e32 v11, 2, v11
	v_cmp_eq_u32_e64 s0, 3, v13
	v_and_b32_e32 v14, 7, v4
	v_cndmask_b32_e64 v2, 0, 1, vcc_lo
	v_cmp_ne_u32_e32 vcc_lo, 0, v9
	v_lshrrev_b32_e32 v4, 2, v4
	v_cmp_lt_i32_e64 s1, 5, v14
	v_cmp_eq_u32_e64 s2, 3, v14
	v_cndmask_b32_e64 v9, 0, 1, vcc_lo
	v_cmp_lt_i32_e32 vcc_lo, 5, v13
	v_lshl_or_b32 v2, v2, 9, 0x7c00
	v_lshl_or_b32 v9, v9, 9, 0x7c00
	s_or_b32 vcc_lo, s0, vcc_lo
	v_add_co_ci_u32_e32 v11, vcc_lo, 0, v11, vcc_lo
	s_or_b32 vcc_lo, s2, s1
	v_add_co_ci_u32_e32 v4, vcc_lo, 0, v4, vcc_lo
	v_cmp_gt_i32_e32 vcc_lo, 31, v7
	v_cndmask_b32_e32 v11, 0x7c00, v11, vcc_lo
	v_cmp_gt_i32_e32 vcc_lo, 31, v12
	v_cndmask_b32_e32 v4, 0x7c00, v4, vcc_lo
	v_cmp_eq_u32_e32 vcc_lo, 0x40f, v7
	v_lshrrev_b32_e32 v7, 16, v10
	v_cndmask_b32_e32 v2, v11, v2, vcc_lo
	v_cmp_eq_u32_e32 vcc_lo, 0x40f, v12
	v_and_or_b32 v2, 0x8000, v8, v2
	v_cndmask_b32_e32 v4, v4, v9, vcc_lo
	v_add_co_u32 v0, vcc_lo, v0, s6
	v_add_co_ci_u32_e32 v1, vcc_lo, s7, v1, vcc_lo
	v_and_or_b32 v4, 0x8000, v7, v4
	v_and_b32_e32 v2, 0xffff, v2
	v_lshl_or_b32 v2, v4, 16, v2
	v_lshrrev_b32_e32 v4, 16, v3
	global_store_dword v[0:1], v2, off
	global_load_dword v2, v[58:59], off offset:1212
	s_waitcnt vmcnt(0)
	v_mul_f16_sdwa v7, v4, v2 dst_sel:DWORD dst_unused:UNUSED_PAD src0_sel:DWORD src1_sel:WORD_1
	v_mul_f16_sdwa v8, v3, v2 dst_sel:DWORD dst_unused:UNUSED_PAD src0_sel:DWORD src1_sel:WORD_1
	v_fmac_f16_e32 v7, v3, v2
	v_fma_f16 v2, v2, v4, -v8
	v_cvt_f32_f16_e32 v3, v7
	v_cvt_f32_f16_e32 v4, v2
	v_cvt_f64_f32_e32 v[2:3], v3
	v_cvt_f64_f32_e32 v[7:8], v4
	v_mul_f64 v[2:3], v[2:3], s[4:5]
	v_mul_f64 v[7:8], v[7:8], s[4:5]
	v_and_or_b32 v2, 0x1ff, v3, v2
	v_and_or_b32 v7, 0x1ff, v8, v7
	v_lshrrev_b32_e32 v4, 8, v3
	v_bfe_u32 v9, v3, 20, 11
	v_lshrrev_b32_e32 v10, 8, v8
	v_cmp_ne_u32_e32 vcc_lo, 0, v2
	v_bfe_u32 v11, v8, 20, 11
	v_lshrrev_b32_e32 v3, 16, v3
	v_sub_nc_u32_e32 v12, 0x3f1, v9
	v_add_nc_u32_e32 v9, 0xfffffc10, v9
	v_cndmask_b32_e64 v2, 0, 1, vcc_lo
	v_cmp_ne_u32_e32 vcc_lo, 0, v7
	v_lshrrev_b32_e32 v8, 16, v8
	v_and_or_b32 v2, 0xffe, v4, v2
	v_cndmask_b32_e64 v7, 0, 1, vcc_lo
	v_sub_nc_u32_e32 v4, 0x3f1, v11
	v_add_nc_u32_e32 v11, 0xfffffc10, v11
	v_and_or_b32 v7, 0xffe, v10, v7
	v_med3_i32 v10, v12, 0, 13
	v_or_b32_e32 v12, 0x1000, v2
	v_med3_i32 v4, v4, 0, 13
	v_or_b32_e32 v13, 0x1000, v7
	v_lshrrev_b32_e32 v14, v10, v12
	v_lshrrev_b32_e32 v15, v4, v13
	v_lshlrev_b32_e32 v10, v10, v14
	v_lshlrev_b32_e32 v4, v4, v15
	v_cmp_ne_u32_e32 vcc_lo, v10, v12
	v_lshl_or_b32 v12, v9, 12, v2
	v_cndmask_b32_e64 v10, 0, 1, vcc_lo
	v_cmp_ne_u32_e32 vcc_lo, v4, v13
	v_lshl_or_b32 v13, v11, 12, v7
	v_or_b32_e32 v10, v14, v10
	v_cndmask_b32_e64 v4, 0, 1, vcc_lo
	v_cmp_gt_i32_e32 vcc_lo, 1, v9
	v_or_b32_e32 v4, v15, v4
	v_cndmask_b32_e32 v10, v12, v10, vcc_lo
	v_cmp_gt_i32_e32 vcc_lo, 1, v11
	v_and_b32_e32 v12, 7, v10
	v_cndmask_b32_e32 v4, v13, v4, vcc_lo
	v_cmp_ne_u32_e32 vcc_lo, 0, v2
	v_lshrrev_b32_e32 v10, 2, v10
	v_cmp_eq_u32_e64 s0, 3, v12
	v_and_b32_e32 v13, 7, v4
	v_cndmask_b32_e64 v2, 0, 1, vcc_lo
	v_cmp_ne_u32_e32 vcc_lo, 0, v7
	v_lshrrev_b32_e32 v4, 2, v4
	v_cmp_lt_i32_e64 s1, 5, v13
	v_cmp_eq_u32_e64 s2, 3, v13
	v_cndmask_b32_e64 v7, 0, 1, vcc_lo
	v_cmp_lt_i32_e32 vcc_lo, 5, v12
	v_lshl_or_b32 v2, v2, 9, 0x7c00
	v_lshl_or_b32 v7, v7, 9, 0x7c00
	s_or_b32 vcc_lo, s0, vcc_lo
	v_add_co_ci_u32_e32 v10, vcc_lo, 0, v10, vcc_lo
	s_or_b32 vcc_lo, s2, s1
	v_add_co_ci_u32_e32 v4, vcc_lo, 0, v4, vcc_lo
	v_cmp_gt_i32_e32 vcc_lo, 31, v9
	v_cndmask_b32_e32 v10, 0x7c00, v10, vcc_lo
	v_cmp_gt_i32_e32 vcc_lo, 31, v11
	v_cndmask_b32_e32 v4, 0x7c00, v4, vcc_lo
	v_cmp_eq_u32_e32 vcc_lo, 0x40f, v9
	v_cndmask_b32_e32 v2, v10, v2, vcc_lo
	v_cmp_eq_u32_e32 vcc_lo, 0x40f, v11
	v_and_or_b32 v2, 0x8000, v3, v2
	v_cndmask_b32_e32 v4, v4, v7, vcc_lo
	v_add_co_u32 v0, vcc_lo, v0, s6
	v_add_co_ci_u32_e32 v1, vcc_lo, s7, v1, vcc_lo
	v_and_or_b32 v3, 0x8000, v8, v4
	v_and_b32_e32 v2, 0xffff, v2
	v_lshl_or_b32 v2, v3, 16, v2
	global_store_dword v[0:1], v2, off
	global_load_dword v4, v[58:59], off offset:1712
	ds_read2_b32 v[2:3], v5 offset0:44 offset1:169
	s_waitcnt lgkmcnt(0)
	v_lshrrev_b32_e32 v5, 16, v2
	s_waitcnt vmcnt(0)
	v_mul_f16_sdwa v7, v5, v4 dst_sel:DWORD dst_unused:UNUSED_PAD src0_sel:DWORD src1_sel:WORD_1
	v_mul_f16_sdwa v8, v2, v4 dst_sel:DWORD dst_unused:UNUSED_PAD src0_sel:DWORD src1_sel:WORD_1
	v_fmac_f16_e32 v7, v2, v4
	v_fma_f16 v2, v4, v5, -v8
	v_cvt_f32_f16_e32 v4, v7
	v_cvt_f32_f16_e32 v2, v2
	v_cvt_f64_f32_e32 v[4:5], v4
	v_cvt_f64_f32_e32 v[7:8], v2
	v_mul_f64 v[4:5], v[4:5], s[4:5]
	v_mul_f64 v[7:8], v[7:8], s[4:5]
	v_and_or_b32 v2, 0x1ff, v5, v4
	v_and_or_b32 v7, 0x1ff, v8, v7
	v_lshrrev_b32_e32 v4, 8, v5
	v_bfe_u32 v9, v5, 20, 11
	v_lshrrev_b32_e32 v10, 8, v8
	v_cmp_ne_u32_e32 vcc_lo, 0, v2
	v_bfe_u32 v11, v8, 20, 11
	v_lshrrev_b32_e32 v5, 16, v5
	v_sub_nc_u32_e32 v12, 0x3f1, v9
	v_add_nc_u32_e32 v9, 0xfffffc10, v9
	v_cndmask_b32_e64 v2, 0, 1, vcc_lo
	v_cmp_ne_u32_e32 vcc_lo, 0, v7
	v_lshrrev_b32_e32 v8, 16, v8
	v_and_or_b32 v2, 0xffe, v4, v2
	v_cndmask_b32_e64 v7, 0, 1, vcc_lo
	v_sub_nc_u32_e32 v4, 0x3f1, v11
	v_add_nc_u32_e32 v11, 0xfffffc10, v11
	v_and_or_b32 v7, 0xffe, v10, v7
	v_med3_i32 v10, v12, 0, 13
	v_or_b32_e32 v12, 0x1000, v2
	v_med3_i32 v4, v4, 0, 13
	v_or_b32_e32 v13, 0x1000, v7
	v_lshrrev_b32_e32 v14, v10, v12
	v_lshrrev_b32_e32 v15, v4, v13
	v_lshlrev_b32_e32 v10, v10, v14
	v_lshlrev_b32_e32 v4, v4, v15
	v_cmp_ne_u32_e32 vcc_lo, v10, v12
	v_lshl_or_b32 v12, v9, 12, v2
	v_cndmask_b32_e64 v10, 0, 1, vcc_lo
	v_cmp_ne_u32_e32 vcc_lo, v4, v13
	v_lshl_or_b32 v13, v11, 12, v7
	v_or_b32_e32 v10, v14, v10
	v_cndmask_b32_e64 v4, 0, 1, vcc_lo
	v_cmp_gt_i32_e32 vcc_lo, 1, v9
	v_or_b32_e32 v4, v15, v4
	v_cndmask_b32_e32 v10, v12, v10, vcc_lo
	v_cmp_gt_i32_e32 vcc_lo, 1, v11
	v_and_b32_e32 v12, 7, v10
	v_cndmask_b32_e32 v4, v13, v4, vcc_lo
	v_cmp_ne_u32_e32 vcc_lo, 0, v2
	v_lshrrev_b32_e32 v10, 2, v10
	v_cmp_eq_u32_e64 s0, 3, v12
	v_and_b32_e32 v13, 7, v4
	v_cndmask_b32_e64 v2, 0, 1, vcc_lo
	v_cmp_ne_u32_e32 vcc_lo, 0, v7
	v_lshrrev_b32_e32 v4, 2, v4
	v_cmp_lt_i32_e64 s1, 5, v13
	v_cmp_eq_u32_e64 s2, 3, v13
	v_cndmask_b32_e64 v7, 0, 1, vcc_lo
	v_cmp_lt_i32_e32 vcc_lo, 5, v12
	v_lshl_or_b32 v2, v2, 9, 0x7c00
	v_lshl_or_b32 v7, v7, 9, 0x7c00
	s_or_b32 vcc_lo, s0, vcc_lo
	v_add_co_ci_u32_e32 v10, vcc_lo, 0, v10, vcc_lo
	s_or_b32 vcc_lo, s2, s1
	v_add_co_ci_u32_e32 v4, vcc_lo, 0, v4, vcc_lo
	v_cmp_gt_i32_e32 vcc_lo, 31, v9
	v_cndmask_b32_e32 v10, 0x7c00, v10, vcc_lo
	v_cmp_gt_i32_e32 vcc_lo, 31, v11
	v_cndmask_b32_e32 v4, 0x7c00, v4, vcc_lo
	v_cmp_eq_u32_e32 vcc_lo, 0x40f, v9
	v_cndmask_b32_e32 v2, v10, v2, vcc_lo
	v_cmp_eq_u32_e32 vcc_lo, 0x40f, v11
	v_and_or_b32 v2, 0x8000, v5, v2
	v_cndmask_b32_e32 v4, v4, v7, vcc_lo
	v_add_co_u32 v0, vcc_lo, v0, s6
	v_add_co_ci_u32_e32 v1, vcc_lo, s7, v1, vcc_lo
	v_and_or_b32 v4, 0x8000, v8, v4
	v_and_b32_e32 v2, 0xffff, v2
	v_lshl_or_b32 v2, v4, 16, v2
	v_lshrrev_b32_e32 v4, 16, v3
	global_store_dword v[0:1], v2, off
	global_load_dword v2, v[56:57], off offset:164
	s_waitcnt vmcnt(0)
	v_mul_f16_sdwa v5, v4, v2 dst_sel:DWORD dst_unused:UNUSED_PAD src0_sel:DWORD src1_sel:WORD_1
	v_mul_f16_sdwa v7, v3, v2 dst_sel:DWORD dst_unused:UNUSED_PAD src0_sel:DWORD src1_sel:WORD_1
	v_fmac_f16_e32 v5, v3, v2
	v_fma_f16 v2, v2, v4, -v7
	v_cvt_f32_f16_e32 v3, v5
	v_cvt_f32_f16_e32 v4, v2
	v_cvt_f64_f32_e32 v[2:3], v3
	v_cvt_f64_f32_e32 v[4:5], v4
	v_mul_f64 v[2:3], v[2:3], s[4:5]
	v_mul_f64 v[4:5], v[4:5], s[4:5]
	v_and_or_b32 v2, 0x1ff, v3, v2
	v_and_or_b32 v4, 0x1ff, v5, v4
	v_lshrrev_b32_e32 v7, 8, v3
	v_bfe_u32 v8, v3, 20, 11
	v_lshrrev_b32_e32 v9, 8, v5
	v_cmp_ne_u32_e32 vcc_lo, 0, v2
	v_bfe_u32 v10, v5, 20, 11
	v_lshrrev_b32_e32 v3, 16, v3
	v_sub_nc_u32_e32 v11, 0x3f1, v8
	v_add_nc_u32_e32 v8, 0xfffffc10, v8
	v_cndmask_b32_e64 v2, 0, 1, vcc_lo
	v_cmp_ne_u32_e32 vcc_lo, 0, v4
	v_lshrrev_b32_e32 v5, 16, v5
	v_and_or_b32 v2, 0xffe, v7, v2
	v_cndmask_b32_e64 v4, 0, 1, vcc_lo
	v_sub_nc_u32_e32 v7, 0x3f1, v10
	v_add_nc_u32_e32 v10, 0xfffffc10, v10
	v_and_or_b32 v4, 0xffe, v9, v4
	v_med3_i32 v9, v11, 0, 13
	v_or_b32_e32 v11, 0x1000, v2
	v_med3_i32 v7, v7, 0, 13
	v_or_b32_e32 v12, 0x1000, v4
	v_lshrrev_b32_e32 v13, v9, v11
	v_lshrrev_b32_e32 v14, v7, v12
	v_lshlrev_b32_e32 v9, v9, v13
	v_lshlrev_b32_e32 v7, v7, v14
	v_cmp_ne_u32_e32 vcc_lo, v9, v11
	v_lshl_or_b32 v11, v8, 12, v2
	v_cndmask_b32_e64 v9, 0, 1, vcc_lo
	v_cmp_ne_u32_e32 vcc_lo, v7, v12
	v_lshl_or_b32 v12, v10, 12, v4
	v_or_b32_e32 v9, v13, v9
	v_cndmask_b32_e64 v7, 0, 1, vcc_lo
	v_cmp_gt_i32_e32 vcc_lo, 1, v8
	v_or_b32_e32 v7, v14, v7
	v_cndmask_b32_e32 v9, v11, v9, vcc_lo
	v_cmp_gt_i32_e32 vcc_lo, 1, v10
	v_and_b32_e32 v11, 7, v9
	v_cndmask_b32_e32 v7, v12, v7, vcc_lo
	v_cmp_ne_u32_e32 vcc_lo, 0, v2
	v_lshrrev_b32_e32 v9, 2, v9
	v_cmp_eq_u32_e64 s0, 3, v11
	v_and_b32_e32 v12, 7, v7
	v_cndmask_b32_e64 v2, 0, 1, vcc_lo
	v_cmp_ne_u32_e32 vcc_lo, 0, v4
	v_lshrrev_b32_e32 v7, 2, v7
	v_cmp_lt_i32_e64 s1, 5, v12
	v_cmp_eq_u32_e64 s2, 3, v12
	v_cndmask_b32_e64 v4, 0, 1, vcc_lo
	v_cmp_lt_i32_e32 vcc_lo, 5, v11
	v_lshl_or_b32 v2, v2, 9, 0x7c00
	v_lshl_or_b32 v4, v4, 9, 0x7c00
	s_or_b32 vcc_lo, s0, vcc_lo
	v_add_co_ci_u32_e32 v9, vcc_lo, 0, v9, vcc_lo
	s_or_b32 vcc_lo, s2, s1
	v_add_co_ci_u32_e32 v7, vcc_lo, 0, v7, vcc_lo
	v_cmp_gt_i32_e32 vcc_lo, 31, v8
	v_cndmask_b32_e32 v9, 0x7c00, v9, vcc_lo
	v_cmp_gt_i32_e32 vcc_lo, 31, v10
	v_cndmask_b32_e32 v7, 0x7c00, v7, vcc_lo
	v_cmp_eq_u32_e32 vcc_lo, 0x40f, v8
	v_cndmask_b32_e32 v2, v9, v2, vcc_lo
	v_cmp_eq_u32_e32 vcc_lo, 0x40f, v10
	v_and_or_b32 v2, 0x8000, v3, v2
	v_cndmask_b32_e32 v4, v7, v4, vcc_lo
	v_add_co_u32 v0, vcc_lo, v0, s6
	v_add_co_ci_u32_e32 v1, vcc_lo, s7, v1, vcc_lo
	v_and_or_b32 v3, 0x8000, v5, v4
	v_and_b32_e32 v2, 0xffff, v2
	v_lshl_or_b32 v2, v3, 16, v2
	global_store_dword v[0:1], v2, off
	global_load_dword v4, v[56:57], off offset:664
	ds_read2_b32 v[2:3], v6 offset0:38 offset1:163
	s_waitcnt lgkmcnt(0)
	v_lshrrev_b32_e32 v5, 16, v2
	s_waitcnt vmcnt(0)
	v_mul_f16_sdwa v6, v5, v4 dst_sel:DWORD dst_unused:UNUSED_PAD src0_sel:DWORD src1_sel:WORD_1
	v_mul_f16_sdwa v7, v2, v4 dst_sel:DWORD dst_unused:UNUSED_PAD src0_sel:DWORD src1_sel:WORD_1
	v_fmac_f16_e32 v6, v2, v4
	v_fma_f16 v2, v4, v5, -v7
	v_cvt_f32_f16_e32 v4, v6
	v_cvt_f32_f16_e32 v2, v2
	v_cvt_f64_f32_e32 v[4:5], v4
	v_cvt_f64_f32_e32 v[6:7], v2
	v_mul_f64 v[4:5], v[4:5], s[4:5]
	v_mul_f64 v[6:7], v[6:7], s[4:5]
	v_and_or_b32 v2, 0x1ff, v5, v4
	v_and_or_b32 v6, 0x1ff, v7, v6
	v_lshrrev_b32_e32 v4, 8, v5
	v_bfe_u32 v8, v5, 20, 11
	v_lshrrev_b32_e32 v9, 8, v7
	v_cmp_ne_u32_e32 vcc_lo, 0, v2
	v_bfe_u32 v10, v7, 20, 11
	v_lshrrev_b32_e32 v5, 16, v5
	v_sub_nc_u32_e32 v11, 0x3f1, v8
	v_add_nc_u32_e32 v8, 0xfffffc10, v8
	v_cndmask_b32_e64 v2, 0, 1, vcc_lo
	v_cmp_ne_u32_e32 vcc_lo, 0, v6
	v_lshrrev_b32_e32 v7, 16, v7
	v_and_or_b32 v2, 0xffe, v4, v2
	v_cndmask_b32_e64 v6, 0, 1, vcc_lo
	v_sub_nc_u32_e32 v4, 0x3f1, v10
	v_add_nc_u32_e32 v10, 0xfffffc10, v10
	v_and_or_b32 v6, 0xffe, v9, v6
	v_med3_i32 v9, v11, 0, 13
	v_or_b32_e32 v11, 0x1000, v2
	v_med3_i32 v4, v4, 0, 13
	v_or_b32_e32 v12, 0x1000, v6
	v_lshrrev_b32_e32 v13, v9, v11
	v_lshrrev_b32_e32 v14, v4, v12
	v_lshlrev_b32_e32 v9, v9, v13
	v_lshlrev_b32_e32 v4, v4, v14
	v_cmp_ne_u32_e32 vcc_lo, v9, v11
	v_lshl_or_b32 v11, v8, 12, v2
	v_cndmask_b32_e64 v9, 0, 1, vcc_lo
	v_cmp_ne_u32_e32 vcc_lo, v4, v12
	v_lshl_or_b32 v12, v10, 12, v6
	v_or_b32_e32 v9, v13, v9
	v_cndmask_b32_e64 v4, 0, 1, vcc_lo
	v_cmp_gt_i32_e32 vcc_lo, 1, v8
	v_or_b32_e32 v4, v14, v4
	v_cndmask_b32_e32 v9, v11, v9, vcc_lo
	v_cmp_gt_i32_e32 vcc_lo, 1, v10
	v_and_b32_e32 v11, 7, v9
	v_cndmask_b32_e32 v4, v12, v4, vcc_lo
	v_cmp_ne_u32_e32 vcc_lo, 0, v2
	v_lshrrev_b32_e32 v9, 2, v9
	v_cmp_eq_u32_e64 s0, 3, v11
	v_and_b32_e32 v12, 7, v4
	v_cndmask_b32_e64 v2, 0, 1, vcc_lo
	v_cmp_ne_u32_e32 vcc_lo, 0, v6
	v_lshrrev_b32_e32 v4, 2, v4
	v_cmp_lt_i32_e64 s1, 5, v12
	v_cmp_eq_u32_e64 s2, 3, v12
	v_cndmask_b32_e64 v6, 0, 1, vcc_lo
	v_cmp_lt_i32_e32 vcc_lo, 5, v11
	v_lshl_or_b32 v2, v2, 9, 0x7c00
	v_lshl_or_b32 v6, v6, 9, 0x7c00
	s_or_b32 vcc_lo, s0, vcc_lo
	v_add_co_ci_u32_e32 v9, vcc_lo, 0, v9, vcc_lo
	s_or_b32 vcc_lo, s2, s1
	v_add_co_ci_u32_e32 v4, vcc_lo, 0, v4, vcc_lo
	v_cmp_gt_i32_e32 vcc_lo, 31, v8
	v_cndmask_b32_e32 v9, 0x7c00, v9, vcc_lo
	v_cmp_gt_i32_e32 vcc_lo, 31, v10
	v_cndmask_b32_e32 v4, 0x7c00, v4, vcc_lo
	v_cmp_eq_u32_e32 vcc_lo, 0x40f, v8
	v_cndmask_b32_e32 v2, v9, v2, vcc_lo
	v_cmp_eq_u32_e32 vcc_lo, 0x40f, v10
	v_and_or_b32 v2, 0x8000, v5, v2
	v_cndmask_b32_e32 v4, v4, v6, vcc_lo
	v_add_co_u32 v0, vcc_lo, v0, s6
	v_add_co_ci_u32_e32 v1, vcc_lo, s7, v1, vcc_lo
	v_and_or_b32 v4, 0x8000, v7, v4
	v_and_b32_e32 v2, 0xffff, v2
	v_lshl_or_b32 v2, v4, 16, v2
	v_lshrrev_b32_e32 v4, 16, v3
	global_store_dword v[0:1], v2, off
	global_load_dword v2, v[56:57], off offset:1164
	s_waitcnt vmcnt(0)
	v_mul_f16_sdwa v5, v4, v2 dst_sel:DWORD dst_unused:UNUSED_PAD src0_sel:DWORD src1_sel:WORD_1
	v_mul_f16_sdwa v6, v3, v2 dst_sel:DWORD dst_unused:UNUSED_PAD src0_sel:DWORD src1_sel:WORD_1
	v_fmac_f16_e32 v5, v3, v2
	v_fma_f16 v2, v2, v4, -v6
	v_cvt_f32_f16_e32 v3, v5
	v_cvt_f32_f16_e32 v4, v2
	v_cvt_f64_f32_e32 v[2:3], v3
	v_cvt_f64_f32_e32 v[4:5], v4
	v_mul_f64 v[2:3], v[2:3], s[4:5]
	v_mul_f64 v[4:5], v[4:5], s[4:5]
	v_and_or_b32 v2, 0x1ff, v3, v2
	v_and_or_b32 v4, 0x1ff, v5, v4
	v_lshrrev_b32_e32 v6, 8, v3
	v_bfe_u32 v7, v3, 20, 11
	v_lshrrev_b32_e32 v8, 8, v5
	v_cmp_ne_u32_e32 vcc_lo, 0, v2
	v_bfe_u32 v9, v5, 20, 11
	v_lshrrev_b32_e32 v3, 16, v3
	v_sub_nc_u32_e32 v10, 0x3f1, v7
	v_add_nc_u32_e32 v7, 0xfffffc10, v7
	v_cndmask_b32_e64 v2, 0, 1, vcc_lo
	v_cmp_ne_u32_e32 vcc_lo, 0, v4
	v_lshrrev_b32_e32 v5, 16, v5
	v_and_or_b32 v2, 0xffe, v6, v2
	v_cndmask_b32_e64 v4, 0, 1, vcc_lo
	v_sub_nc_u32_e32 v6, 0x3f1, v9
	v_add_nc_u32_e32 v9, 0xfffffc10, v9
	v_and_or_b32 v4, 0xffe, v8, v4
	v_med3_i32 v8, v10, 0, 13
	v_or_b32_e32 v10, 0x1000, v2
	v_med3_i32 v6, v6, 0, 13
	v_or_b32_e32 v11, 0x1000, v4
	v_lshrrev_b32_e32 v12, v8, v10
	v_lshrrev_b32_e32 v13, v6, v11
	v_lshlrev_b32_e32 v8, v8, v12
	v_lshlrev_b32_e32 v6, v6, v13
	v_cmp_ne_u32_e32 vcc_lo, v8, v10
	v_lshl_or_b32 v10, v7, 12, v2
	v_cndmask_b32_e64 v8, 0, 1, vcc_lo
	v_cmp_ne_u32_e32 vcc_lo, v6, v11
	v_lshl_or_b32 v11, v9, 12, v4
	v_or_b32_e32 v8, v12, v8
	v_cndmask_b32_e64 v6, 0, 1, vcc_lo
	v_cmp_gt_i32_e32 vcc_lo, 1, v7
	v_or_b32_e32 v6, v13, v6
	v_cndmask_b32_e32 v8, v10, v8, vcc_lo
	v_cmp_gt_i32_e32 vcc_lo, 1, v9
	v_and_b32_e32 v10, 7, v8
	v_cndmask_b32_e32 v6, v11, v6, vcc_lo
	v_cmp_ne_u32_e32 vcc_lo, 0, v2
	v_lshrrev_b32_e32 v8, 2, v8
	v_cmp_eq_u32_e64 s0, 3, v10
	v_and_b32_e32 v11, 7, v6
	v_cndmask_b32_e64 v2, 0, 1, vcc_lo
	v_cmp_ne_u32_e32 vcc_lo, 0, v4
	v_lshrrev_b32_e32 v6, 2, v6
	v_cmp_lt_i32_e64 s1, 5, v11
	v_cmp_eq_u32_e64 s2, 3, v11
	v_cndmask_b32_e64 v4, 0, 1, vcc_lo
	v_cmp_lt_i32_e32 vcc_lo, 5, v10
	v_lshl_or_b32 v2, v2, 9, 0x7c00
	v_lshl_or_b32 v4, v4, 9, 0x7c00
	s_or_b32 vcc_lo, s0, vcc_lo
	v_add_co_ci_u32_e32 v8, vcc_lo, 0, v8, vcc_lo
	s_or_b32 vcc_lo, s2, s1
	v_add_co_ci_u32_e32 v6, vcc_lo, 0, v6, vcc_lo
	v_cmp_gt_i32_e32 vcc_lo, 31, v7
	v_cndmask_b32_e32 v8, 0x7c00, v8, vcc_lo
	v_cmp_gt_i32_e32 vcc_lo, 31, v9
	v_cndmask_b32_e32 v6, 0x7c00, v6, vcc_lo
	v_cmp_eq_u32_e32 vcc_lo, 0x40f, v7
	v_cndmask_b32_e32 v2, v8, v2, vcc_lo
	v_cmp_eq_u32_e32 vcc_lo, 0x40f, v9
	v_and_or_b32 v2, 0x8000, v3, v2
	v_cndmask_b32_e32 v4, v6, v4, vcc_lo
	v_add_co_u32 v0, vcc_lo, v0, s6
	v_add_co_ci_u32_e32 v1, vcc_lo, s7, v1, vcc_lo
	v_and_or_b32 v3, 0x8000, v5, v4
	v_and_b32_e32 v2, 0xffff, v2
	v_lshl_or_b32 v2, v3, 16, v2
	global_store_dword v[0:1], v2, off
	global_load_dword v4, v[56:57], off offset:1664
	v_add_nc_u32_e32 v2, 0x1600, v89
	ds_read2_b32 v[2:3], v2 offset0:32 offset1:157
	s_waitcnt lgkmcnt(0)
	v_lshrrev_b32_e32 v5, 16, v2
	s_waitcnt vmcnt(0)
	v_mul_f16_sdwa v6, v5, v4 dst_sel:DWORD dst_unused:UNUSED_PAD src0_sel:DWORD src1_sel:WORD_1
	v_mul_f16_sdwa v7, v2, v4 dst_sel:DWORD dst_unused:UNUSED_PAD src0_sel:DWORD src1_sel:WORD_1
	v_fmac_f16_e32 v6, v2, v4
	v_fma_f16 v2, v4, v5, -v7
	v_cvt_f32_f16_e32 v4, v6
	v_cvt_f32_f16_e32 v2, v2
	v_cvt_f64_f32_e32 v[4:5], v4
	v_cvt_f64_f32_e32 v[6:7], v2
	v_mul_f64 v[4:5], v[4:5], s[4:5]
	v_mul_f64 v[6:7], v[6:7], s[4:5]
	v_and_or_b32 v2, 0x1ff, v5, v4
	v_and_or_b32 v6, 0x1ff, v7, v6
	v_lshrrev_b32_e32 v4, 8, v5
	v_bfe_u32 v8, v5, 20, 11
	v_lshrrev_b32_e32 v9, 8, v7
	v_cmp_ne_u32_e32 vcc_lo, 0, v2
	v_bfe_u32 v10, v7, 20, 11
	v_lshrrev_b32_e32 v5, 16, v5
	v_sub_nc_u32_e32 v11, 0x3f1, v8
	v_add_nc_u32_e32 v8, 0xfffffc10, v8
	v_cndmask_b32_e64 v2, 0, 1, vcc_lo
	v_cmp_ne_u32_e32 vcc_lo, 0, v6
	v_lshrrev_b32_e32 v7, 16, v7
	v_and_or_b32 v2, 0xffe, v4, v2
	v_cndmask_b32_e64 v6, 0, 1, vcc_lo
	v_sub_nc_u32_e32 v4, 0x3f1, v10
	v_add_nc_u32_e32 v10, 0xfffffc10, v10
	v_and_or_b32 v6, 0xffe, v9, v6
	v_med3_i32 v9, v11, 0, 13
	v_or_b32_e32 v11, 0x1000, v2
	v_med3_i32 v4, v4, 0, 13
	v_or_b32_e32 v12, 0x1000, v6
	v_lshrrev_b32_e32 v13, v9, v11
	v_lshrrev_b32_e32 v14, v4, v12
	v_lshlrev_b32_e32 v9, v9, v13
	v_lshlrev_b32_e32 v4, v4, v14
	v_cmp_ne_u32_e32 vcc_lo, v9, v11
	v_lshl_or_b32 v11, v8, 12, v2
	v_cndmask_b32_e64 v9, 0, 1, vcc_lo
	v_cmp_ne_u32_e32 vcc_lo, v4, v12
	v_lshl_or_b32 v12, v10, 12, v6
	v_or_b32_e32 v9, v13, v9
	v_cndmask_b32_e64 v4, 0, 1, vcc_lo
	v_cmp_gt_i32_e32 vcc_lo, 1, v8
	v_or_b32_e32 v4, v14, v4
	v_cndmask_b32_e32 v9, v11, v9, vcc_lo
	v_cmp_gt_i32_e32 vcc_lo, 1, v10
	v_and_b32_e32 v11, 7, v9
	v_cndmask_b32_e32 v4, v12, v4, vcc_lo
	v_cmp_ne_u32_e32 vcc_lo, 0, v2
	v_lshrrev_b32_e32 v9, 2, v9
	v_cmp_eq_u32_e64 s0, 3, v11
	v_and_b32_e32 v12, 7, v4
	v_cndmask_b32_e64 v2, 0, 1, vcc_lo
	v_cmp_ne_u32_e32 vcc_lo, 0, v6
	v_lshrrev_b32_e32 v4, 2, v4
	v_cmp_lt_i32_e64 s1, 5, v12
	v_cmp_eq_u32_e64 s2, 3, v12
	v_cndmask_b32_e64 v6, 0, 1, vcc_lo
	v_cmp_lt_i32_e32 vcc_lo, 5, v11
	v_lshl_or_b32 v2, v2, 9, 0x7c00
	v_lshl_or_b32 v6, v6, 9, 0x7c00
	s_or_b32 vcc_lo, s0, vcc_lo
	v_add_co_ci_u32_e32 v9, vcc_lo, 0, v9, vcc_lo
	s_or_b32 vcc_lo, s2, s1
	v_add_co_ci_u32_e32 v4, vcc_lo, 0, v4, vcc_lo
	v_cmp_gt_i32_e32 vcc_lo, 31, v8
	v_cndmask_b32_e32 v9, 0x7c00, v9, vcc_lo
	v_cmp_gt_i32_e32 vcc_lo, 31, v10
	v_cndmask_b32_e32 v4, 0x7c00, v4, vcc_lo
	v_cmp_eq_u32_e32 vcc_lo, 0x40f, v8
	v_cndmask_b32_e32 v2, v9, v2, vcc_lo
	v_cmp_eq_u32_e32 vcc_lo, 0x40f, v10
	v_and_or_b32 v2, 0x8000, v5, v2
	v_cndmask_b32_e32 v4, v4, v6, vcc_lo
	v_add_co_u32 v0, vcc_lo, v0, s6
	v_add_co_ci_u32_e32 v1, vcc_lo, s7, v1, vcc_lo
	v_and_or_b32 v4, 0x8000, v7, v4
	v_and_b32_e32 v2, 0xffff, v2
	v_lshl_or_b32 v2, v4, 16, v2
	v_lshrrev_b32_e32 v4, 16, v3
	global_store_dword v[0:1], v2, off
	global_load_dword v2, v[63:64], off offset:116
	s_waitcnt vmcnt(0)
	v_mul_f16_sdwa v5, v4, v2 dst_sel:DWORD dst_unused:UNUSED_PAD src0_sel:DWORD src1_sel:WORD_1
	v_mul_f16_sdwa v6, v3, v2 dst_sel:DWORD dst_unused:UNUSED_PAD src0_sel:DWORD src1_sel:WORD_1
	v_fmac_f16_e32 v5, v3, v2
	v_fma_f16 v2, v2, v4, -v6
	v_cvt_f32_f16_e32 v3, v5
	v_cvt_f32_f16_e32 v4, v2
	v_cvt_f64_f32_e32 v[2:3], v3
	v_cvt_f64_f32_e32 v[4:5], v4
	v_mul_f64 v[2:3], v[2:3], s[4:5]
	v_mul_f64 v[4:5], v[4:5], s[4:5]
	v_and_or_b32 v2, 0x1ff, v3, v2
	v_and_or_b32 v4, 0x1ff, v5, v4
	v_lshrrev_b32_e32 v6, 8, v3
	v_bfe_u32 v7, v3, 20, 11
	v_lshrrev_b32_e32 v8, 8, v5
	v_cmp_ne_u32_e32 vcc_lo, 0, v2
	v_bfe_u32 v9, v5, 20, 11
	v_lshrrev_b32_e32 v3, 16, v3
	v_sub_nc_u32_e32 v10, 0x3f1, v7
	v_add_nc_u32_e32 v7, 0xfffffc10, v7
	v_cndmask_b32_e64 v2, 0, 1, vcc_lo
	v_cmp_ne_u32_e32 vcc_lo, 0, v4
	v_lshrrev_b32_e32 v5, 16, v5
	v_and_or_b32 v2, 0xffe, v6, v2
	v_cndmask_b32_e64 v4, 0, 1, vcc_lo
	v_sub_nc_u32_e32 v6, 0x3f1, v9
	v_add_nc_u32_e32 v9, 0xfffffc10, v9
	v_and_or_b32 v4, 0xffe, v8, v4
	v_med3_i32 v8, v10, 0, 13
	v_or_b32_e32 v10, 0x1000, v2
	v_med3_i32 v6, v6, 0, 13
	v_or_b32_e32 v11, 0x1000, v4
	v_lshrrev_b32_e32 v12, v8, v10
	v_lshrrev_b32_e32 v13, v6, v11
	v_lshlrev_b32_e32 v8, v8, v12
	v_lshlrev_b32_e32 v6, v6, v13
	v_cmp_ne_u32_e32 vcc_lo, v8, v10
	v_lshl_or_b32 v10, v7, 12, v2
	v_cndmask_b32_e64 v8, 0, 1, vcc_lo
	v_cmp_ne_u32_e32 vcc_lo, v6, v11
	v_lshl_or_b32 v11, v9, 12, v4
	v_or_b32_e32 v8, v12, v8
	v_cndmask_b32_e64 v6, 0, 1, vcc_lo
	v_cmp_gt_i32_e32 vcc_lo, 1, v7
	v_or_b32_e32 v6, v13, v6
	v_cndmask_b32_e32 v8, v10, v8, vcc_lo
	v_cmp_gt_i32_e32 vcc_lo, 1, v9
	v_and_b32_e32 v10, 7, v8
	v_cndmask_b32_e32 v6, v11, v6, vcc_lo
	v_cmp_ne_u32_e32 vcc_lo, 0, v2
	v_lshrrev_b32_e32 v8, 2, v8
	v_cmp_eq_u32_e64 s0, 3, v10
	v_and_b32_e32 v11, 7, v6
	v_cndmask_b32_e64 v2, 0, 1, vcc_lo
	v_cmp_ne_u32_e32 vcc_lo, 0, v4
	v_lshrrev_b32_e32 v6, 2, v6
	v_cmp_lt_i32_e64 s1, 5, v11
	v_cmp_eq_u32_e64 s2, 3, v11
	v_cndmask_b32_e64 v4, 0, 1, vcc_lo
	v_cmp_lt_i32_e32 vcc_lo, 5, v10
	v_lshl_or_b32 v2, v2, 9, 0x7c00
	v_lshl_or_b32 v4, v4, 9, 0x7c00
	s_or_b32 vcc_lo, s0, vcc_lo
	v_add_co_ci_u32_e32 v8, vcc_lo, 0, v8, vcc_lo
	s_or_b32 vcc_lo, s2, s1
	v_add_co_ci_u32_e32 v6, vcc_lo, 0, v6, vcc_lo
	v_cmp_gt_i32_e32 vcc_lo, 31, v7
	v_cndmask_b32_e32 v8, 0x7c00, v8, vcc_lo
	v_cmp_gt_i32_e32 vcc_lo, 31, v9
	v_cndmask_b32_e32 v6, 0x7c00, v6, vcc_lo
	v_cmp_eq_u32_e32 vcc_lo, 0x40f, v7
	v_cndmask_b32_e32 v2, v8, v2, vcc_lo
	v_cmp_eq_u32_e32 vcc_lo, 0x40f, v9
	v_and_or_b32 v2, 0x8000, v3, v2
	v_cndmask_b32_e32 v4, v6, v4, vcc_lo
	v_add_co_u32 v0, vcc_lo, v0, s6
	v_add_co_ci_u32_e32 v1, vcc_lo, s7, v1, vcc_lo
	v_and_or_b32 v3, 0x8000, v5, v4
	v_and_b32_e32 v2, 0xffff, v2
	v_lshl_or_b32 v2, v3, 16, v2
	global_store_dword v[0:1], v2, off
.LBB0_15:
	s_endpgm
	.section	.rodata,"a",@progbits
	.p2align	6, 0x0
	.amdhsa_kernel bluestein_single_back_len1625_dim1_half_op_CI_CI
		.amdhsa_group_segment_fixed_size 13000
		.amdhsa_private_segment_fixed_size 0
		.amdhsa_kernarg_size 104
		.amdhsa_user_sgpr_count 6
		.amdhsa_user_sgpr_private_segment_buffer 1
		.amdhsa_user_sgpr_dispatch_ptr 0
		.amdhsa_user_sgpr_queue_ptr 0
		.amdhsa_user_sgpr_kernarg_segment_ptr 1
		.amdhsa_user_sgpr_dispatch_id 0
		.amdhsa_user_sgpr_flat_scratch_init 0
		.amdhsa_user_sgpr_private_segment_size 0
		.amdhsa_wavefront_size32 1
		.amdhsa_uses_dynamic_stack 0
		.amdhsa_system_sgpr_private_segment_wavefront_offset 0
		.amdhsa_system_sgpr_workgroup_id_x 1
		.amdhsa_system_sgpr_workgroup_id_y 0
		.amdhsa_system_sgpr_workgroup_id_z 0
		.amdhsa_system_sgpr_workgroup_info 0
		.amdhsa_system_vgpr_workitem_id 0
		.amdhsa_next_free_vgpr 218
		.amdhsa_next_free_sgpr 16
		.amdhsa_reserve_vcc 1
		.amdhsa_reserve_flat_scratch 0
		.amdhsa_float_round_mode_32 0
		.amdhsa_float_round_mode_16_64 0
		.amdhsa_float_denorm_mode_32 3
		.amdhsa_float_denorm_mode_16_64 3
		.amdhsa_dx10_clamp 1
		.amdhsa_ieee_mode 1
		.amdhsa_fp16_overflow 0
		.amdhsa_workgroup_processor_mode 1
		.amdhsa_memory_ordered 1
		.amdhsa_forward_progress 0
		.amdhsa_shared_vgpr_count 0
		.amdhsa_exception_fp_ieee_invalid_op 0
		.amdhsa_exception_fp_denorm_src 0
		.amdhsa_exception_fp_ieee_div_zero 0
		.amdhsa_exception_fp_ieee_overflow 0
		.amdhsa_exception_fp_ieee_underflow 0
		.amdhsa_exception_fp_ieee_inexact 0
		.amdhsa_exception_int_div_zero 0
	.end_amdhsa_kernel
	.text
.Lfunc_end0:
	.size	bluestein_single_back_len1625_dim1_half_op_CI_CI, .Lfunc_end0-bluestein_single_back_len1625_dim1_half_op_CI_CI
                                        ; -- End function
	.section	.AMDGPU.csdata,"",@progbits
; Kernel info:
; codeLenInByte = 49960
; NumSgprs: 18
; NumVgprs: 218
; ScratchSize: 0
; MemoryBound: 0
; FloatMode: 240
; IeeeMode: 1
; LDSByteSize: 13000 bytes/workgroup (compile time only)
; SGPRBlocks: 2
; VGPRBlocks: 27
; NumSGPRsForWavesPerEU: 18
; NumVGPRsForWavesPerEU: 218
; Occupancy: 4
; WaveLimiterHint : 1
; COMPUTE_PGM_RSRC2:SCRATCH_EN: 0
; COMPUTE_PGM_RSRC2:USER_SGPR: 6
; COMPUTE_PGM_RSRC2:TRAP_HANDLER: 0
; COMPUTE_PGM_RSRC2:TGID_X_EN: 1
; COMPUTE_PGM_RSRC2:TGID_Y_EN: 0
; COMPUTE_PGM_RSRC2:TGID_Z_EN: 0
; COMPUTE_PGM_RSRC2:TIDIG_COMP_CNT: 0
	.text
	.p2alignl 6, 3214868480
	.fill 48, 4, 3214868480
	.type	__hip_cuid_c80b8de4c9922714,@object ; @__hip_cuid_c80b8de4c9922714
	.section	.bss,"aw",@nobits
	.globl	__hip_cuid_c80b8de4c9922714
__hip_cuid_c80b8de4c9922714:
	.byte	0                               ; 0x0
	.size	__hip_cuid_c80b8de4c9922714, 1

	.ident	"AMD clang version 19.0.0git (https://github.com/RadeonOpenCompute/llvm-project roc-6.4.0 25133 c7fe45cf4b819c5991fe208aaa96edf142730f1d)"
	.section	".note.GNU-stack","",@progbits
	.addrsig
	.addrsig_sym __hip_cuid_c80b8de4c9922714
	.amdgpu_metadata
---
amdhsa.kernels:
  - .args:
      - .actual_access:  read_only
        .address_space:  global
        .offset:         0
        .size:           8
        .value_kind:     global_buffer
      - .actual_access:  read_only
        .address_space:  global
        .offset:         8
        .size:           8
        .value_kind:     global_buffer
      - .actual_access:  read_only
        .address_space:  global
        .offset:         16
        .size:           8
        .value_kind:     global_buffer
      - .actual_access:  read_only
        .address_space:  global
        .offset:         24
        .size:           8
        .value_kind:     global_buffer
      - .actual_access:  read_only
        .address_space:  global
        .offset:         32
        .size:           8
        .value_kind:     global_buffer
      - .offset:         40
        .size:           8
        .value_kind:     by_value
      - .address_space:  global
        .offset:         48
        .size:           8
        .value_kind:     global_buffer
      - .address_space:  global
        .offset:         56
        .size:           8
        .value_kind:     global_buffer
      - .address_space:  global
        .offset:         64
        .size:           8
        .value_kind:     global_buffer
      - .address_space:  global
        .offset:         72
        .size:           8
        .value_kind:     global_buffer
      - .offset:         80
        .size:           4
        .value_kind:     by_value
      - .address_space:  global
        .offset:         88
        .size:           8
        .value_kind:     global_buffer
      - .address_space:  global
        .offset:         96
        .size:           8
        .value_kind:     global_buffer
    .group_segment_fixed_size: 13000
    .kernarg_segment_align: 8
    .kernarg_segment_size: 104
    .language:       OpenCL C
    .language_version:
      - 2
      - 0
    .max_flat_workgroup_size: 130
    .name:           bluestein_single_back_len1625_dim1_half_op_CI_CI
    .private_segment_fixed_size: 0
    .sgpr_count:     18
    .sgpr_spill_count: 0
    .symbol:         bluestein_single_back_len1625_dim1_half_op_CI_CI.kd
    .uniform_work_group_size: 1
    .uses_dynamic_stack: false
    .vgpr_count:     218
    .vgpr_spill_count: 0
    .wavefront_size: 32
    .workgroup_processor_mode: 1
amdhsa.target:   amdgcn-amd-amdhsa--gfx1030
amdhsa.version:
  - 1
  - 2
...

	.end_amdgpu_metadata
